;; amdgpu-corpus repo=ROCm/rocFFT kind=compiled arch=gfx906 opt=O3
	.text
	.amdgcn_target "amdgcn-amd-amdhsa--gfx906"
	.amdhsa_code_object_version 6
	.protected	fft_rtc_back_len578_factors_17_17_2_wgs_238_tpt_34_halfLds_sp_op_CI_CI_unitstride_sbrr_R2C_dirReg ; -- Begin function fft_rtc_back_len578_factors_17_17_2_wgs_238_tpt_34_halfLds_sp_op_CI_CI_unitstride_sbrr_R2C_dirReg
	.globl	fft_rtc_back_len578_factors_17_17_2_wgs_238_tpt_34_halfLds_sp_op_CI_CI_unitstride_sbrr_R2C_dirReg
	.p2align	8
	.type	fft_rtc_back_len578_factors_17_17_2_wgs_238_tpt_34_halfLds_sp_op_CI_CI_unitstride_sbrr_R2C_dirReg,@function
fft_rtc_back_len578_factors_17_17_2_wgs_238_tpt_34_halfLds_sp_op_CI_CI_unitstride_sbrr_R2C_dirReg: ; @fft_rtc_back_len578_factors_17_17_2_wgs_238_tpt_34_halfLds_sp_op_CI_CI_unitstride_sbrr_R2C_dirReg
; %bb.0:
	s_load_dwordx4 s[8:11], s[4:5], 0x58
	s_load_dwordx4 s[12:15], s[4:5], 0x0
	;; [unrolled: 1-line block ×3, first 2 shown]
	v_mul_u32_u24_e32 v1, 0x788, v0
	v_lshrrev_b32_e32 v1, 16, v1
	v_mad_u64_u32 v[3:4], s[0:1], s6, 7, v[1:2]
	v_mov_b32_e32 v5, 0
	v_mov_b32_e32 v1, 0
	;; [unrolled: 1-line block ×3, first 2 shown]
	s_waitcnt lgkmcnt(0)
	v_cmp_lt_u64_e64 s[0:1], s[14:15], 2
	v_mov_b32_e32 v2, 0
	v_mov_b32_e32 v17, v2
	;; [unrolled: 1-line block ×3, first 2 shown]
	s_and_b64 vcc, exec, s[0:1]
	v_mov_b32_e32 v16, v1
	v_mov_b32_e32 v20, v3
	s_cbranch_vccnz .LBB0_8
; %bb.1:
	s_load_dwordx2 s[0:1], s[4:5], 0x10
	s_add_u32 s2, s18, 8
	s_addc_u32 s3, s19, 0
	s_add_u32 s6, s16, 8
	v_mov_b32_e32 v1, 0
	s_addc_u32 s7, s17, 0
	v_mov_b32_e32 v2, 0
	s_waitcnt lgkmcnt(0)
	s_add_u32 s20, s0, 8
	v_mov_b32_e32 v17, v2
	v_mov_b32_e32 v8, v4
	s_addc_u32 s21, s1, 0
	s_mov_b64 s[22:23], 1
	v_mov_b32_e32 v16, v1
	v_mov_b32_e32 v7, v3
.LBB0_2:                                ; =>This Inner Loop Header: Depth=1
	s_load_dwordx2 s[24:25], s[20:21], 0x0
                                        ; implicit-def: $vgpr20_vgpr21
	s_waitcnt lgkmcnt(0)
	v_or_b32_e32 v6, s25, v8
	v_cmp_ne_u64_e32 vcc, 0, v[5:6]
	s_and_saveexec_b64 s[0:1], vcc
	s_xor_b64 s[26:27], exec, s[0:1]
	s_cbranch_execz .LBB0_4
; %bb.3:                                ;   in Loop: Header=BB0_2 Depth=1
	v_cvt_f32_u32_e32 v4, s24
	v_cvt_f32_u32_e32 v6, s25
	s_sub_u32 s0, 0, s24
	s_subb_u32 s1, 0, s25
	v_mac_f32_e32 v4, 0x4f800000, v6
	v_rcp_f32_e32 v4, v4
	v_mul_f32_e32 v4, 0x5f7ffffc, v4
	v_mul_f32_e32 v6, 0x2f800000, v4
	v_trunc_f32_e32 v6, v6
	v_mac_f32_e32 v4, 0xcf800000, v6
	v_cvt_u32_f32_e32 v6, v6
	v_cvt_u32_f32_e32 v4, v4
	v_mul_lo_u32 v9, s0, v6
	v_mul_hi_u32 v10, s0, v4
	v_mul_lo_u32 v12, s1, v4
	v_mul_lo_u32 v11, s0, v4
	v_add_u32_e32 v9, v10, v9
	v_add_u32_e32 v9, v9, v12
	v_mul_hi_u32 v10, v4, v11
	v_mul_lo_u32 v12, v4, v9
	v_mul_hi_u32 v14, v4, v9
	v_mul_hi_u32 v13, v6, v11
	v_mul_lo_u32 v11, v6, v11
	v_mul_hi_u32 v15, v6, v9
	v_add_co_u32_e32 v10, vcc, v10, v12
	v_addc_co_u32_e32 v12, vcc, 0, v14, vcc
	v_mul_lo_u32 v9, v6, v9
	v_add_co_u32_e32 v10, vcc, v10, v11
	v_addc_co_u32_e32 v10, vcc, v12, v13, vcc
	v_addc_co_u32_e32 v11, vcc, 0, v15, vcc
	v_add_co_u32_e32 v9, vcc, v10, v9
	v_addc_co_u32_e32 v10, vcc, 0, v11, vcc
	v_add_co_u32_e32 v4, vcc, v4, v9
	v_addc_co_u32_e32 v6, vcc, v6, v10, vcc
	v_mul_lo_u32 v9, s0, v6
	v_mul_hi_u32 v10, s0, v4
	v_mul_lo_u32 v11, s1, v4
	v_mul_lo_u32 v12, s0, v4
	v_add_u32_e32 v9, v10, v9
	v_add_u32_e32 v9, v9, v11
	v_mul_lo_u32 v13, v4, v9
	v_mul_hi_u32 v14, v4, v12
	v_mul_hi_u32 v15, v4, v9
	;; [unrolled: 1-line block ×3, first 2 shown]
	v_mul_lo_u32 v12, v6, v12
	v_mul_hi_u32 v10, v6, v9
	v_add_co_u32_e32 v13, vcc, v14, v13
	v_addc_co_u32_e32 v14, vcc, 0, v15, vcc
	v_mul_lo_u32 v9, v6, v9
	v_add_co_u32_e32 v12, vcc, v13, v12
	v_addc_co_u32_e32 v11, vcc, v14, v11, vcc
	v_addc_co_u32_e32 v10, vcc, 0, v10, vcc
	v_add_co_u32_e32 v9, vcc, v11, v9
	v_addc_co_u32_e32 v10, vcc, 0, v10, vcc
	v_add_co_u32_e32 v4, vcc, v4, v9
	v_addc_co_u32_e32 v6, vcc, v6, v10, vcc
	v_mad_u64_u32 v[9:10], s[0:1], v7, v6, 0
	v_mul_hi_u32 v11, v7, v4
	v_add_co_u32_e32 v13, vcc, v11, v9
	v_addc_co_u32_e32 v14, vcc, 0, v10, vcc
	v_mad_u64_u32 v[9:10], s[0:1], v8, v4, 0
	v_mad_u64_u32 v[11:12], s[0:1], v8, v6, 0
	v_add_co_u32_e32 v4, vcc, v13, v9
	v_addc_co_u32_e32 v4, vcc, v14, v10, vcc
	v_addc_co_u32_e32 v6, vcc, 0, v12, vcc
	v_add_co_u32_e32 v4, vcc, v4, v11
	v_addc_co_u32_e32 v6, vcc, 0, v6, vcc
	v_mul_lo_u32 v11, s25, v4
	v_mul_lo_u32 v12, s24, v6
	v_mad_u64_u32 v[9:10], s[0:1], s24, v4, 0
	v_add3_u32 v10, v10, v12, v11
	v_sub_u32_e32 v11, v8, v10
	v_mov_b32_e32 v12, s25
	v_sub_co_u32_e32 v9, vcc, v7, v9
	v_subb_co_u32_e64 v11, s[0:1], v11, v12, vcc
	v_subrev_co_u32_e64 v12, s[0:1], s24, v9
	v_subbrev_co_u32_e64 v11, s[0:1], 0, v11, s[0:1]
	v_cmp_le_u32_e64 s[0:1], s25, v11
	v_cndmask_b32_e64 v13, 0, -1, s[0:1]
	v_cmp_le_u32_e64 s[0:1], s24, v12
	v_cndmask_b32_e64 v12, 0, -1, s[0:1]
	v_cmp_eq_u32_e64 s[0:1], s25, v11
	v_cndmask_b32_e64 v11, v13, v12, s[0:1]
	v_add_co_u32_e64 v12, s[0:1], 2, v4
	v_addc_co_u32_e64 v13, s[0:1], 0, v6, s[0:1]
	v_add_co_u32_e64 v14, s[0:1], 1, v4
	v_addc_co_u32_e64 v15, s[0:1], 0, v6, s[0:1]
	v_subb_co_u32_e32 v10, vcc, v8, v10, vcc
	v_cmp_ne_u32_e64 s[0:1], 0, v11
	v_cmp_le_u32_e32 vcc, s25, v10
	v_cndmask_b32_e64 v11, v15, v13, s[0:1]
	v_cndmask_b32_e64 v13, 0, -1, vcc
	v_cmp_le_u32_e32 vcc, s24, v9
	v_cndmask_b32_e64 v9, 0, -1, vcc
	v_cmp_eq_u32_e32 vcc, s25, v10
	v_cndmask_b32_e32 v9, v13, v9, vcc
	v_cmp_ne_u32_e32 vcc, 0, v9
	v_cndmask_b32_e32 v21, v6, v11, vcc
	v_cndmask_b32_e64 v6, v14, v12, s[0:1]
	v_cndmask_b32_e32 v20, v4, v6, vcc
.LBB0_4:                                ;   in Loop: Header=BB0_2 Depth=1
	s_andn2_saveexec_b64 s[0:1], s[26:27]
	s_cbranch_execz .LBB0_6
; %bb.5:                                ;   in Loop: Header=BB0_2 Depth=1
	v_cvt_f32_u32_e32 v4, s24
	s_sub_i32 s26, 0, s24
	v_mov_b32_e32 v21, v5
	v_rcp_iflag_f32_e32 v4, v4
	v_mul_f32_e32 v4, 0x4f7ffffe, v4
	v_cvt_u32_f32_e32 v4, v4
	v_mul_lo_u32 v6, s26, v4
	v_mul_hi_u32 v6, v4, v6
	v_add_u32_e32 v4, v4, v6
	v_mul_hi_u32 v4, v7, v4
	v_mul_lo_u32 v6, v4, s24
	v_add_u32_e32 v9, 1, v4
	v_sub_u32_e32 v6, v7, v6
	v_subrev_u32_e32 v10, s24, v6
	v_cmp_le_u32_e32 vcc, s24, v6
	v_cndmask_b32_e32 v6, v6, v10, vcc
	v_cndmask_b32_e32 v4, v4, v9, vcc
	v_add_u32_e32 v9, 1, v4
	v_cmp_le_u32_e32 vcc, s24, v6
	v_cndmask_b32_e32 v20, v4, v9, vcc
.LBB0_6:                                ;   in Loop: Header=BB0_2 Depth=1
	s_or_b64 exec, exec, s[0:1]
	v_mul_lo_u32 v4, v21, s24
	v_mul_lo_u32 v6, v20, s25
	v_mad_u64_u32 v[9:10], s[0:1], v20, s24, 0
	s_load_dwordx2 s[0:1], s[6:7], 0x0
	s_load_dwordx2 s[24:25], s[2:3], 0x0
	v_add3_u32 v4, v10, v6, v4
	v_sub_co_u32_e32 v6, vcc, v7, v9
	v_subb_co_u32_e32 v4, vcc, v8, v4, vcc
	s_waitcnt lgkmcnt(0)
	v_mul_lo_u32 v7, s0, v4
	v_mul_lo_u32 v8, s1, v6
	v_mad_u64_u32 v[1:2], s[0:1], s0, v6, v[1:2]
	s_add_u32 s22, s22, 1
	s_addc_u32 s23, s23, 0
	s_add_u32 s2, s2, 8
	v_mul_lo_u32 v4, s24, v4
	v_mul_lo_u32 v9, s25, v6
	v_mad_u64_u32 v[16:17], s[0:1], s24, v6, v[16:17]
	v_add3_u32 v2, v8, v2, v7
	s_addc_u32 s3, s3, 0
	v_mov_b32_e32 v6, s14
	s_add_u32 s6, s6, 8
	v_mov_b32_e32 v7, s15
	s_addc_u32 s7, s7, 0
	v_cmp_ge_u64_e32 vcc, s[22:23], v[6:7]
	s_add_u32 s20, s20, 8
	v_add3_u32 v17, v9, v17, v4
	s_addc_u32 s21, s21, 0
	s_cbranch_vccnz .LBB0_8
; %bb.7:                                ;   in Loop: Header=BB0_2 Depth=1
	v_mov_b32_e32 v7, v20
	v_mov_b32_e32 v8, v21
	s_branch .LBB0_2
.LBB0_8:
	s_mov_b32 s0, 0x24924925
	v_mul_hi_u32 v4, v3, s0
	s_load_dwordx2 s[4:5], s[4:5], 0x28
	s_lshl_b64 s[6:7], s[14:15], 3
	s_add_u32 s2, s18, s6
	v_sub_u32_e32 v5, v3, v4
	v_lshrrev_b32_e32 v5, 1, v5
	v_add_u32_e32 v4, v5, v4
	v_lshrrev_b32_e32 v4, 2, v4
	v_mul_lo_u32 v4, v4, 7
	s_waitcnt lgkmcnt(0)
	v_cmp_gt_u64_e64 s[0:1], s[4:5], v[20:21]
	v_cmp_le_u64_e32 vcc, s[4:5], v[20:21]
	s_addc_u32 s3, s19, s7
	v_sub_u32_e32 v3, v3, v4
                                        ; implicit-def: $vgpr18
                                        ; implicit-def: $vgpr29
                                        ; implicit-def: $vgpr28
                                        ; implicit-def: $vgpr27
                                        ; implicit-def: $vgpr26
                                        ; implicit-def: $vgpr25
                                        ; implicit-def: $vgpr24
                                        ; implicit-def: $vgpr23
                                        ; implicit-def: $vgpr22
	s_and_saveexec_b64 s[4:5], vcc
	s_xor_b64 s[4:5], exec, s[4:5]
	s_cbranch_execz .LBB0_10
; %bb.9:
	s_mov_b32 s14, 0x7878788
	v_mul_hi_u32 v1, v0, s14
	v_mul_u32_u24_e32 v1, 34, v1
	v_sub_u32_e32 v18, v0, v1
	v_add_u32_e32 v29, 34, v18
	v_add_u32_e32 v28, 0x44, v18
	v_add_u32_e32 v27, 0x66, v18
	v_add_u32_e32 v26, 0x88, v18
	v_add_u32_e32 v25, 0xaa, v18
	v_add_u32_e32 v24, 0xcc, v18
	v_add_u32_e32 v23, 0xee, v18
	v_add_u32_e32 v22, 0x110, v18
                                        ; implicit-def: $vgpr0
                                        ; implicit-def: $vgpr1_vgpr2
.LBB0_10:
	s_or_saveexec_b64 s[4:5], s[4:5]
	v_mul_u32_u24_e32 v3, 0x243, v3
	v_lshlrev_b32_e32 v52, 3, v3
	s_xor_b64 exec, exec, s[4:5]
	s_cbranch_execz .LBB0_12
; %bb.11:
	s_add_u32 s6, s16, s6
	s_addc_u32 s7, s17, s7
	s_load_dwordx2 s[6:7], s[6:7], 0x0
	s_mov_b32 s14, 0x7878788
	v_mul_hi_u32 v5, v0, s14
	s_waitcnt lgkmcnt(0)
	v_mul_lo_u32 v6, s7, v20
	v_mul_lo_u32 v7, s6, v21
	v_mad_u64_u32 v[3:4], s[6:7], s6, v20, 0
	v_mul_u32_u24_e32 v5, 34, v5
	v_sub_u32_e32 v18, v0, v5
	v_add3_u32 v4, v4, v7, v6
	v_lshlrev_b64 v[3:4], 3, v[3:4]
	v_mov_b32_e32 v0, s9
	v_add_co_u32_e32 v3, vcc, s8, v3
	v_addc_co_u32_e32 v4, vcc, v0, v4, vcc
	v_lshlrev_b64 v[0:1], 3, v[1:2]
	v_lshlrev_b32_e32 v19, 3, v18
	v_add_co_u32_e32 v0, vcc, v3, v0
	v_addc_co_u32_e32 v1, vcc, v4, v1, vcc
	v_add_co_u32_e32 v0, vcc, v0, v19
	v_addc_co_u32_e32 v1, vcc, 0, v1, vcc
	v_add_co_u32_e32 v22, vcc, 0x1000, v0
	global_load_dwordx2 v[2:3], v[0:1], off offset:2176
	global_load_dwordx2 v[4:5], v[0:1], off offset:2448
	;; [unrolled: 1-line block ×8, first 2 shown]
	global_load_dwordx2 v[32:33], v[0:1], off
	global_load_dwordx2 v[34:35], v[0:1], off offset:272
	global_load_dwordx2 v[36:37], v[0:1], off offset:544
	;; [unrolled: 1-line block ×3, first 2 shown]
	v_addc_co_u32_e32 v23, vcc, 0, v1, vcc
	global_load_dwordx2 v[40:41], v[0:1], off offset:1088
	global_load_dwordx2 v[42:43], v[0:1], off offset:1360
	;; [unrolled: 1-line block ×5, first 2 shown]
	v_add3_u32 v0, 0, v52, v19
	v_add_u32_e32 v29, 34, v18
	v_add_u32_e32 v28, 0x44, v18
	;; [unrolled: 1-line block ×9, first 2 shown]
	s_waitcnt vmcnt(15)
	ds_write2_b64 v1, v[2:3], v[4:5] offset0:16 offset1:50
	s_waitcnt vmcnt(13)
	ds_write2_b64 v1, v[6:7], v[8:9] offset0:84 offset1:118
	s_waitcnt vmcnt(11)
	ds_write2_b64 v1, v[10:11], v[12:13] offset0:152 offset1:186
	s_waitcnt vmcnt(9)
	ds_write2_b64 v1, v[14:15], v[30:31] offset0:220 offset1:254
	s_waitcnt vmcnt(7)
	ds_write2_b64 v0, v[32:33], v[34:35] offset1:34
	s_waitcnt vmcnt(5)
	ds_write2_b64 v0, v[36:37], v[38:39] offset0:68 offset1:102
	s_waitcnt vmcnt(3)
	ds_write2_b64 v0, v[40:41], v[42:43] offset0:136 offset1:170
	;; [unrolled: 2-line block ×3, first 2 shown]
	s_waitcnt vmcnt(0)
	ds_write_b64 v0, v[48:49] offset:4352
.LBB0_12:
	s_or_b64 exec, exec, s[4:5]
	v_add_u32_e32 v62, 0, v52
	v_lshlrev_b32_e32 v64, 3, v18
	v_add_u32_e32 v63, v62, v64
	s_load_dwordx2 s[4:5], s[2:3], 0x0
	s_waitcnt lgkmcnt(0)
	s_barrier
	ds_read_b64 v[32:33], v63
	v_add3_u32 v65, 0, v64, v52
	ds_read2_b64 v[34:37], v65 offset0:34 offset1:68
	ds_read2_b64 v[66:69], v65 offset0:102 offset1:136
	;; [unrolled: 1-line block ×3, first 2 shown]
	v_add_u32_e32 v0, 0x400, v65
	ds_read2_b64 v[0:3], v0 offset0:110 offset1:144
	s_waitcnt lgkmcnt(3)
	v_add_f32_e32 v31, v33, v35
	v_add_f32_e32 v30, v32, v34
	;; [unrolled: 1-line block ×4, first 2 shown]
	s_waitcnt lgkmcnt(2)
	v_add_f32_e32 v31, v31, v67
	v_add_f32_e32 v30, v30, v66
	;; [unrolled: 1-line block ×3, first 2 shown]
	v_add_u32_e32 v54, 0x800, v65
	v_add_f32_e32 v30, v30, v68
	s_waitcnt lgkmcnt(1)
	v_add_f32_e32 v31, v31, v9
	ds_read2_b64 v[4:7], v54 offset0:50 offset1:84
	ds_read2_b64 v[12:15], v54 offset0:118 offset1:152
	ds_read2_b64 v[70:73], v54 offset0:186 offset1:220
	v_add_f32_e32 v30, v30, v8
	v_add_f32_e32 v31, v31, v11
	v_add_u32_e32 v19, 0xc00, v65
	v_add_f32_e32 v30, v30, v10
	s_waitcnt lgkmcnt(3)
	v_add_f32_e32 v31, v31, v1
	ds_read2_b64 v[39:42], v19 offset0:126 offset1:160
	v_add_f32_e32 v30, v30, v0
	v_add_f32_e32 v31, v31, v3
	v_add_f32_e32 v30, v30, v2
	s_waitcnt lgkmcnt(3)
	v_add_f32_e32 v31, v31, v5
	v_add_f32_e32 v30, v30, v4
	v_add_f32_e32 v31, v31, v7
	v_add_f32_e32 v30, v30, v6
	s_waitcnt lgkmcnt(2)
	v_add_f32_e32 v31, v31, v13
	;; [unrolled: 5-line block ×3, first 2 shown]
	s_waitcnt lgkmcnt(0)
	v_sub_f32_e32 v61, v35, v42
	v_add_f32_e32 v30, v30, v70
	v_add_f32_e32 v31, v31, v73
	;; [unrolled: 1-line block ×3, first 2 shown]
	v_sub_f32_e32 v47, v34, v41
	v_mul_f32_e32 v34, 0xbeb8f4ab, v61
	s_mov_b32 s6, 0x3f6eb680
	v_add_f32_e32 v30, v30, v72
	v_add_f32_e32 v31, v31, v40
	v_mov_b32_e32 v50, v34
	v_fma_f32 v51, v60, s6, -v34
	v_mul_f32_e32 v34, 0xbf2c7751, v61
	s_mov_b32 s7, 0x3f3d2fb0
	v_add_f32_e32 v30, v30, v39
	v_add_f32_e32 v31, v31, v42
	;; [unrolled: 1-line block ×3, first 2 shown]
	v_mov_b32_e32 v58, v34
	v_fma_f32 v59, v60, s7, -v34
	v_mul_f32_e32 v74, 0xbf65296c, v61
	v_add_f32_e32 v34, v39, v36
	v_add_f32_e32 v38, v40, v37
	v_sub_f32_e32 v35, v36, v39
	v_sub_f32_e32 v42, v37, v40
	v_add_f32_e32 v36, v72, v66
	v_sub_f32_e32 v37, v66, v72
	v_add_f32_e32 v39, v70, v68
	;; [unrolled: 2-line block ×4, first 2 shown]
	v_sub_f32_e32 v57, v10, v12
	v_mul_f32_e32 v12, 0xbf7ee86f, v61
	v_mul_f32_e32 v14, 0xbf763a35, v61
	;; [unrolled: 1-line block ×5, first 2 shown]
	v_add_f32_e32 v30, v30, v41
	s_mov_b32 s8, 0x3ee437d1
	v_add_f32_e32 v41, v73, v67
	v_sub_f32_e32 v45, v67, v73
	v_add_f32_e32 v44, v71, v69
	v_sub_f32_e32 v48, v69, v71
	;; [unrolled: 2-line block ×4, first 2 shown]
	v_mov_b32_e32 v10, v74
	s_mov_b32 s9, 0x3dbcf732
	v_mov_b32_e32 v13, v12
	s_mov_b32 s14, 0xbe8c1d8e
	v_mov_b32_e32 v15, v14
	s_mov_b32 s15, 0xbf1a4643
	v_mov_b32_e32 v67, v66
	s_mov_b32 s16, 0xbf59a7d5
	v_mov_b32_e32 v69, v68
	s_mov_b32 s17, 0xbf7ba420
	v_mov_b32_e32 v70, v61
	v_fmac_f32_e32 v50, 0x3f6eb680, v60
	v_fmac_f32_e32 v58, 0x3f3d2fb0, v60
	;; [unrolled: 1-line block ×3, first 2 shown]
	v_fma_f32 v11, v60, s8, -v74
	v_fmac_f32_e32 v13, 0x3dbcf732, v60
	v_fma_f32 v12, v60, s9, -v12
	v_fmac_f32_e32 v15, 0xbe8c1d8e, v60
	;; [unrolled: 2-line block ×5, first 2 shown]
	v_fma_f32 v60, v60, s17, -v61
	v_mul_f32_e32 v61, 0x3f6eb680, v49
	v_mul_f32_e32 v72, 0x3f3d2fb0, v49
	;; [unrolled: 1-line block ×8, first 2 shown]
	v_mov_b32_e32 v71, v61
	v_mov_b32_e32 v73, v72
	;; [unrolled: 1-line block ×8, first 2 shown]
	v_fmac_f32_e32 v71, 0x3eb8f4ab, v47
	v_fmac_f32_e32 v61, 0xbeb8f4ab, v47
	;; [unrolled: 1-line block ×16, first 2 shown]
	v_add_f32_e32 v47, v32, v50
	v_add_f32_e32 v50, v33, v71
	;; [unrolled: 1-line block ×17, first 2 shown]
	v_mul_f32_e32 v49, 0xbf2c7751, v42
	v_add_f32_e32 v51, v32, v51
	v_add_f32_e32 v58, v32, v58
	;; [unrolled: 1-line block ×15, first 2 shown]
	v_mov_b32_e32 v60, v49
	v_fmac_f32_e32 v60, 0x3f3d2fb0, v34
	v_add_f32_e32 v47, v60, v47
	v_mul_f32_e32 v60, 0x3f3d2fb0, v38
	v_mov_b32_e32 v84, v60
	v_fma_f32 v49, v34, s7, -v49
	v_fmac_f32_e32 v60, 0xbf2c7751, v35
	v_add_f32_e32 v49, v49, v51
	v_add_f32_e32 v51, v60, v61
	v_mul_f32_e32 v60, 0xbf7ee86f, v42
	v_mov_b32_e32 v61, v60
	v_fmac_f32_e32 v61, 0x3dbcf732, v34
	v_fmac_f32_e32 v84, 0x3f2c7751, v35
	v_add_f32_e32 v58, v61, v58
	v_mul_f32_e32 v61, 0x3dbcf732, v38
	v_add_f32_e32 v50, v84, v50
	v_mov_b32_e32 v84, v61
	v_fma_f32 v60, v34, s9, -v60
	v_fmac_f32_e32 v61, 0xbf7ee86f, v35
	v_add_f32_e32 v59, v60, v59
	v_add_f32_e32 v60, v61, v72
	v_mul_f32_e32 v61, 0xbf4c4adb, v42
	v_mov_b32_e32 v72, v61
	v_fmac_f32_e32 v72, 0xbf1a4643, v34
	v_fmac_f32_e32 v84, 0x3f7ee86f, v35
	v_add_f32_e32 v10, v72, v10
	v_mul_f32_e32 v72, 0xbf1a4643, v38
	v_add_f32_e32 v71, v84, v71
	;; [unrolled: 12-line block ×6, first 2 shown]
	v_mov_b32_e32 v84, v80
	v_fma_f32 v78, v34, s8, -v78
	v_fmac_f32_e32 v80, 0x3f65296c, v35
	v_mul_f32_e32 v42, 0x3eb8f4ab, v42
	v_add_f32_e32 v68, v78, v68
	v_add_f32_e32 v78, v80, v82
	v_mov_b32_e32 v80, v42
	v_fmac_f32_e32 v80, 0x3f6eb680, v34
	v_mul_f32_e32 v38, 0x3f6eb680, v38
	v_fma_f32 v34, v34, s6, -v42
	v_add_f32_e32 v70, v80, v70
	v_mov_b32_e32 v80, v38
	v_add_f32_e32 v32, v34, v32
	v_mul_f32_e32 v34, 0xbf65296c, v45
	v_fmac_f32_e32 v84, 0xbf65296c, v35
	v_fmac_f32_e32 v80, 0xbeb8f4ab, v35
	;; [unrolled: 1-line block ×3, first 2 shown]
	v_mov_b32_e32 v35, v34
	v_fmac_f32_e32 v35, 0x3ee437d1, v36
	v_add_f32_e32 v35, v35, v47
	v_fma_f32 v34, v36, s8, -v34
	v_mul_f32_e32 v47, 0xbf4c4adb, v45
	v_add_f32_e32 v34, v34, v49
	v_mov_b32_e32 v49, v47
	v_add_f32_e32 v33, v38, v33
	v_mul_f32_e32 v38, 0x3ee437d1, v41
	v_fmac_f32_e32 v49, 0xbf1a4643, v36
	v_mov_b32_e32 v42, v38
	v_add_f32_e32 v49, v49, v58
	v_fma_f32 v47, v36, s15, -v47
	v_mul_f32_e32 v58, 0x3e3c28d5, v45
	v_fmac_f32_e32 v42, 0x3f65296c, v37
	v_add_f32_e32 v47, v47, v59
	v_mov_b32_e32 v59, v58
	v_add_f32_e32 v42, v42, v50
	v_fmac_f32_e32 v38, 0xbf65296c, v37
	v_mul_f32_e32 v50, 0xbf1a4643, v41
	v_fmac_f32_e32 v59, 0xbf7ba420, v36
	v_add_f32_e32 v38, v38, v51
	v_mov_b32_e32 v51, v50
	v_fmac_f32_e32 v50, 0xbf4c4adb, v37
	v_add_f32_e32 v10, v59, v10
	v_mul_f32_e32 v59, 0xbf7ba420, v41
	v_add_f32_e32 v50, v50, v60
	v_mov_b32_e32 v60, v59
	v_fma_f32 v58, v36, s17, -v58
	v_fmac_f32_e32 v59, 0x3e3c28d5, v37
	v_add_f32_e32 v11, v58, v11
	v_add_f32_e32 v58, v59, v61
	v_mul_f32_e32 v59, 0x3f763a35, v45
	v_mov_b32_e32 v61, v59
	v_fmac_f32_e32 v61, 0xbe8c1d8e, v36
	v_fmac_f32_e32 v51, 0x3f4c4adb, v37
	v_add_f32_e32 v13, v61, v13
	v_mul_f32_e32 v61, 0xbe8c1d8e, v41
	v_add_f32_e32 v51, v51, v71
	v_mov_b32_e32 v71, v61
	v_fma_f32 v59, v36, s14, -v59
	v_fmac_f32_e32 v61, 0x3f763a35, v37
	v_add_f32_e32 v12, v59, v12
	v_add_f32_e32 v59, v61, v72
	v_mul_f32_e32 v61, 0x3f2c7751, v45
	v_mov_b32_e32 v72, v61
	v_fmac_f32_e32 v72, 0x3f3d2fb0, v36
	;; [unrolled: 12-line block ×4, first 2 shown]
	v_fmac_f32_e32 v73, 0xbf2c7751, v37
	v_add_f32_e32 v69, v76, v69
	v_mul_f32_e32 v76, 0x3dbcf732, v41
	v_add_f32_e32 v73, v73, v77
	v_mov_b32_e32 v77, v76
	v_fma_f32 v74, v36, s9, -v74
	v_fmac_f32_e32 v76, 0xbf7ee86f, v37
	v_mul_f32_e32 v45, 0xbf06c442, v45
	v_add_f32_e32 v68, v74, v68
	v_add_f32_e32 v74, v76, v78
	v_mov_b32_e32 v76, v45
	v_fmac_f32_e32 v76, 0xbf59a7d5, v36
	v_mul_f32_e32 v41, 0xbf59a7d5, v41
	v_fma_f32 v36, v36, s16, -v45
	v_add_f32_e32 v70, v76, v70
	v_mov_b32_e32 v76, v41
	v_add_f32_e32 v32, v36, v32
	v_mul_f32_e32 v36, 0xbf7ee86f, v48
	v_fmac_f32_e32 v75, 0x3eb8f4ab, v37
	v_fmac_f32_e32 v77, 0x3f7ee86f, v37
	;; [unrolled: 1-line block ×4, first 2 shown]
	v_mov_b32_e32 v37, v36
	v_fmac_f32_e32 v37, 0x3dbcf732, v39
	v_add_f32_e32 v35, v37, v35
	v_mul_f32_e32 v37, 0x3dbcf732, v44
	v_add_f32_e32 v33, v41, v33
	v_mov_b32_e32 v41, v37
	v_fma_f32 v36, v39, s9, -v36
	v_fmac_f32_e32 v37, 0xbf7ee86f, v40
	v_add_f32_e32 v34, v36, v34
	v_add_f32_e32 v36, v37, v38
	v_mul_f32_e32 v37, 0xbe3c28d5, v48
	v_mov_b32_e32 v38, v37
	v_fma_f32 v37, v39, s17, -v37
	v_fmac_f32_e32 v38, 0xbf7ba420, v39
	v_add_f32_e32 v37, v37, v47
	v_mul_f32_e32 v47, 0x3f763a35, v48
	v_fmac_f32_e32 v41, 0x3f7ee86f, v40
	v_add_f32_e32 v38, v38, v49
	v_mov_b32_e32 v49, v47
	v_add_f32_e32 v41, v41, v42
	v_mul_f32_e32 v42, 0xbf7ba420, v44
	v_fmac_f32_e32 v49, 0xbe8c1d8e, v39
	v_mov_b32_e32 v45, v42
	v_fmac_f32_e32 v42, 0xbe3c28d5, v40
	v_add_f32_e32 v10, v49, v10
	v_mul_f32_e32 v49, 0xbe8c1d8e, v44
	v_add_f32_e32 v42, v42, v50
	v_mov_b32_e32 v50, v49
	v_fma_f32 v47, v39, s14, -v47
	v_fmac_f32_e32 v49, 0x3f763a35, v40
	v_fmac_f32_e32 v45, 0x3e3c28d5, v40
	v_add_f32_e32 v11, v47, v11
	v_add_f32_e32 v47, v49, v58
	v_mul_f32_e32 v49, 0x3eb8f4ab, v48
	v_add_f32_e32 v45, v45, v51
	v_mov_b32_e32 v51, v49
	v_fmac_f32_e32 v51, 0x3f6eb680, v39
	v_add_f32_e32 v13, v51, v13
	v_mul_f32_e32 v51, 0x3f6eb680, v44
	v_mov_b32_e32 v58, v51
	v_fma_f32 v49, v39, s6, -v49
	v_fmac_f32_e32 v51, 0x3eb8f4ab, v40
	v_add_f32_e32 v12, v49, v12
	v_add_f32_e32 v49, v51, v59
	v_mul_f32_e32 v51, 0xbf65296c, v48
	v_mov_b32_e32 v59, v51
	v_fmac_f32_e32 v59, 0x3ee437d1, v39
	v_fmac_f32_e32 v50, 0xbf763a35, v40
	v_add_f32_e32 v15, v59, v15
	v_mul_f32_e32 v59, 0x3ee437d1, v44
	v_add_f32_e32 v50, v50, v60
	v_mov_b32_e32 v60, v59
	v_fma_f32 v51, v39, s8, -v51
	v_fmac_f32_e32 v59, 0xbf65296c, v40
	v_add_f32_e32 v14, v51, v14
	v_add_f32_e32 v51, v59, v61
	v_mul_f32_e32 v59, 0xbf06c442, v48
	v_mov_b32_e32 v61, v59
	v_fmac_f32_e32 v61, 0xbf59a7d5, v39
	v_fmac_f32_e32 v58, 0xbeb8f4ab, v40
	v_add_f32_e32 v61, v61, v67
	v_mul_f32_e32 v67, 0xbf59a7d5, v44
	v_add_f32_e32 v58, v58, v71
	;; [unrolled: 12-line block ×3, first 2 shown]
	v_mov_b32_e32 v73, v72
	v_fma_f32 v67, v39, s15, -v67
	v_fmac_f32_e32 v72, 0x3f4c4adb, v40
	v_mul_f32_e32 v48, 0x3f2c7751, v48
	v_add_f32_e32 v67, v67, v68
	v_add_f32_e32 v68, v72, v74
	v_mov_b32_e32 v72, v48
	v_fmac_f32_e32 v72, 0x3f3d2fb0, v39
	v_mul_f32_e32 v44, 0x3f3d2fb0, v44
	v_fma_f32 v39, v39, s7, -v48
	v_add_f32_e32 v70, v72, v70
	v_mov_b32_e32 v72, v44
	v_add_f32_e32 v32, v39, v32
	v_mul_f32_e32 v39, 0xbf763a35, v9
	v_fmac_f32_e32 v71, 0x3f06c442, v40
	v_fmac_f32_e32 v73, 0xbf4c4adb, v40
	v_fmac_f32_e32 v72, 0xbf2c7751, v40
	v_fmac_f32_e32 v44, 0x3f2c7751, v40
	v_mov_b32_e32 v40, v39
	v_fmac_f32_e32 v40, 0xbe8c1d8e, v43
	v_add_f32_e32 v35, v40, v35
	v_mul_f32_e32 v40, 0xbe8c1d8e, v46
	v_fma_f32 v39, v43, s14, -v39
	v_add_f32_e32 v33, v44, v33
	v_mov_b32_e32 v44, v40
	v_add_f32_e32 v34, v39, v34
	v_fmac_f32_e32 v40, 0xbf763a35, v8
	v_mul_f32_e32 v39, 0x3f06c442, v9
	v_add_f32_e32 v36, v40, v36
	v_mov_b32_e32 v40, v39
	v_fmac_f32_e32 v40, 0xbf59a7d5, v43
	v_fmac_f32_e32 v44, 0x3f763a35, v8
	v_add_f32_e32 v38, v40, v38
	v_mul_f32_e32 v40, 0xbf59a7d5, v46
	v_add_f32_e32 v41, v44, v41
	v_mov_b32_e32 v44, v40
	v_fma_f32 v39, v43, s16, -v39
	v_fmac_f32_e32 v40, 0x3f06c442, v8
	v_add_f32_e32 v37, v39, v37
	v_add_f32_e32 v39, v40, v42
	v_mul_f32_e32 v40, 0x3f2c7751, v9
	v_mov_b32_e32 v42, v40
	v_fmac_f32_e32 v42, 0x3f3d2fb0, v43
	v_fmac_f32_e32 v44, 0xbf06c442, v8
	v_add_f32_e32 v42, v42, v10
	v_mul_f32_e32 v10, 0x3f3d2fb0, v46
	v_add_f32_e32 v44, v44, v45
	v_mov_b32_e32 v45, v10
	v_fmac_f32_e32 v10, 0x3f2c7751, v8
	v_fma_f32 v40, v43, s7, -v40
	v_add_f32_e32 v47, v10, v47
	v_mul_f32_e32 v10, 0xbf65296c, v9
	v_add_f32_e32 v40, v40, v11
	v_mov_b32_e32 v11, v10
	v_fmac_f32_e32 v11, 0x3ee437d1, v43
	v_add_f32_e32 v48, v11, v13
	v_mul_f32_e32 v11, 0x3ee437d1, v46
	v_mov_b32_e32 v13, v11
	v_fmac_f32_e32 v45, 0xbf2c7751, v8
	v_fmac_f32_e32 v13, 0x3f65296c, v8
	v_fma_f32 v10, v43, s8, -v10
	v_add_f32_e32 v45, v45, v50
	v_add_f32_e32 v50, v13, v58
	;; [unrolled: 1-line block ×3, first 2 shown]
	v_fmac_f32_e32 v11, 0xbf65296c, v8
	v_mul_f32_e32 v10, 0xbe3c28d5, v9
	v_add_f32_e32 v49, v11, v49
	v_mov_b32_e32 v11, v10
	v_fmac_f32_e32 v11, 0xbf7ba420, v43
	v_add_f32_e32 v75, v75, v79
	v_add_f32_e32 v74, v11, v15
	v_mul_f32_e32 v11, 0xbf7ba420, v46
	v_fma_f32 v10, v43, s17, -v10
	v_add_f32_e32 v71, v71, v75
	v_mov_b32_e32 v12, v11
	v_add_f32_e32 v75, v10, v14
	v_fmac_f32_e32 v11, 0xbe3c28d5, v8
	v_mul_f32_e32 v10, 0x3f7ee86f, v9
	v_add_f32_e32 v51, v11, v51
	v_mov_b32_e32 v11, v10
	v_fmac_f32_e32 v11, 0x3dbcf732, v43
	v_fmac_f32_e32 v12, 0x3e3c28d5, v8
	v_add_f32_e32 v61, v11, v61
	v_mul_f32_e32 v11, 0x3dbcf732, v46
	v_fma_f32 v10, v43, s9, -v10
	v_add_f32_e32 v60, v12, v60
	v_mov_b32_e32 v12, v11
	v_add_f32_e32 v59, v10, v59
	v_fmac_f32_e32 v11, 0x3f7ee86f, v8
	v_mul_f32_e32 v10, 0xbeb8f4ab, v9
	v_add_f32_e32 v66, v11, v66
	v_mov_b32_e32 v11, v10
	v_fma_f32 v10, v43, s6, -v10
	v_mul_f32_e32 v9, 0xbf4c4adb, v9
	v_fmac_f32_e32 v11, 0x3f6eb680, v43
	v_add_f32_e32 v67, v10, v67
	v_mov_b32_e32 v10, v9
	v_fmac_f32_e32 v12, 0xbf7ee86f, v8
	v_add_f32_e32 v69, v11, v69
	v_mul_f32_e32 v11, 0x3f6eb680, v46
	v_fmac_f32_e32 v10, 0xbf1a4643, v43
	v_add_f32_e32 v81, v84, v81
	v_add_f32_e32 v80, v80, v83
	;; [unrolled: 1-line block ×3, first 2 shown]
	v_mov_b32_e32 v12, v11
	v_fmac_f32_e32 v11, 0xbeb8f4ab, v8
	v_add_f32_e32 v70, v10, v70
	v_mul_f32_e32 v10, 0xbf1a4643, v46
	v_add_f32_e32 v77, v77, v81
	v_add_f32_e32 v76, v76, v80
	;; [unrolled: 1-line block ×3, first 2 shown]
	v_mov_b32_e32 v11, v10
	v_fmac_f32_e32 v10, 0xbf4c4adb, v8
	v_add_f32_e32 v73, v73, v77
	v_add_f32_e32 v72, v72, v76
	v_fmac_f32_e32 v11, 0x3f4c4adb, v8
	v_add_f32_e32 v77, v10, v33
	v_mul_f32_e32 v10, 0xbf4c4adb, v53
	v_fmac_f32_e32 v12, 0x3eb8f4ab, v8
	v_add_f32_e32 v72, v11, v72
	v_fma_f32 v9, v43, s15, -v9
	v_mov_b32_e32 v8, v10
	v_mul_f32_e32 v11, 0xbf1a4643, v55
	v_mul_f32_e32 v14, 0x3f763a35, v53
	;; [unrolled: 1-line block ×3, first 2 shown]
	v_add_f32_e32 v73, v12, v73
	v_add_f32_e32 v76, v9, v32
	v_fmac_f32_e32 v8, 0xbf1a4643, v56
	v_mov_b32_e32 v9, v11
	v_fma_f32 v10, v56, s15, -v10
	v_mov_b32_e32 v12, v14
	v_mov_b32_e32 v13, v15
	v_fmac_f32_e32 v15, 0x3f763a35, v57
	v_add_f32_e32 v8, v8, v35
	v_fmac_f32_e32 v9, 0x3f4c4adb, v57
	v_add_f32_e32 v10, v10, v34
	v_fmac_f32_e32 v12, 0xbe8c1d8e, v56
	v_fmac_f32_e32 v13, 0xbf763a35, v57
	v_fma_f32 v14, v56, s14, -v14
	v_add_f32_e32 v15, v15, v39
	v_mul_f32_e32 v34, 0xbeb8f4ab, v53
	v_mul_f32_e32 v35, 0x3f6eb680, v55
	;; [unrolled: 1-line block ×5, first 2 shown]
	v_add_f32_e32 v9, v9, v41
	v_fmac_f32_e32 v11, 0xbf4c4adb, v57
	v_add_f32_e32 v12, v12, v38
	v_add_f32_e32 v13, v13, v44
	;; [unrolled: 1-line block ×3, first 2 shown]
	v_mov_b32_e32 v32, v34
	v_mov_b32_e32 v33, v35
	v_fmac_f32_e32 v35, 0xbeb8f4ab, v57
	v_mul_f32_e32 v38, 0xbf06c442, v53
	v_mov_b32_e32 v37, v39
	v_mov_b32_e32 v41, v43
	v_fmac_f32_e32 v43, 0x3f7ee86f, v57
	v_mov_b32_e32 v44, v46
	v_fma_f32 v46, v56, s7, -v46
	v_add_f32_e32 v11, v11, v36
	v_fmac_f32_e32 v32, 0x3f6eb680, v56
	v_fmac_f32_e32 v33, 0x3eb8f4ab, v57
	v_add_f32_e32 v35, v35, v47
	v_mov_b32_e32 v36, v38
	v_fmac_f32_e32 v37, 0x3f06c442, v57
	v_fma_f32 v38, v56, s16, -v38
	v_fmac_f32_e32 v39, 0xbf06c442, v57
	v_add_f32_e32 v43, v43, v51
	v_mul_f32_e32 v47, 0x3f3d2fb0, v55
	v_add_f32_e32 v46, v46, v59
	v_mul_f32_e32 v51, 0xbf7ba420, v55
	v_mul_f32_e32 v59, 0x3ee437d1, v55
	v_add_f32_e32 v32, v32, v42
	v_add_f32_e32 v33, v33, v45
	v_fma_f32 v34, v56, s6, -v34
	v_fmac_f32_e32 v36, 0xbf59a7d5, v56
	v_add_f32_e32 v37, v37, v50
	v_add_f32_e32 v38, v38, v58
	;; [unrolled: 1-line block ×3, first 2 shown]
	v_mul_f32_e32 v42, 0x3f7ee86f, v53
	v_mov_b32_e32 v45, v47
	v_mul_f32_e32 v50, 0xbe3c28d5, v53
	v_mov_b32_e32 v49, v51
	;; [unrolled: 2-line block ×3, first 2 shown]
	v_fmac_f32_e32 v59, 0x3f65296c, v57
	v_add_f32_e32 v34, v34, v40
	v_add_f32_e32 v36, v36, v48
	v_mov_b32_e32 v40, v42
	v_fmac_f32_e32 v41, 0xbf7ee86f, v57
	v_fmac_f32_e32 v45, 0x3f2c7751, v57
	;; [unrolled: 1-line block ×3, first 2 shown]
	v_mov_b32_e32 v48, v50
	v_fmac_f32_e32 v49, 0x3e3c28d5, v57
	v_fmac_f32_e32 v51, 0xbe3c28d5, v57
	v_mov_b32_e32 v53, v58
	v_fmac_f32_e32 v55, 0xbf65296c, v57
	v_add_f32_e32 v57, v59, v77
	v_add_f32_e32 v59, v7, v1
	v_sub_f32_e32 v1, v1, v7
	v_fmac_f32_e32 v40, 0x3dbcf732, v56
	v_fma_f32 v42, v56, s9, -v42
	v_fmac_f32_e32 v44, 0x3f3d2fb0, v56
	v_fmac_f32_e32 v48, 0xbf7ba420, v56
	v_fma_f32 v50, v56, s17, -v50
	v_fmac_f32_e32 v53, 0x3ee437d1, v56
	v_fma_f32 v56, v56, s8, -v58
	v_add_f32_e32 v58, v6, v0
	v_sub_f32_e32 v0, v0, v6
	v_mul_f32_e32 v6, 0xbf06c442, v1
	v_mov_b32_e32 v7, v6
	v_fmac_f32_e32 v7, 0xbf59a7d5, v58
	v_add_f32_e32 v7, v7, v8
	v_mul_f32_e32 v8, 0xbf59a7d5, v59
	v_fma_f32 v6, v58, s16, -v6
	v_add_f32_e32 v41, v41, v60
	v_mov_b32_e32 v60, v8
	v_add_f32_e32 v6, v6, v10
	v_fmac_f32_e32 v8, 0xbf06c442, v0
	v_mul_f32_e32 v10, 0x3f65296c, v1
	v_add_f32_e32 v8, v8, v11
	v_mov_b32_e32 v11, v10
	v_fmac_f32_e32 v11, 0x3ee437d1, v58
	v_fmac_f32_e32 v60, 0x3f06c442, v0
	v_add_f32_e32 v11, v11, v12
	v_mul_f32_e32 v12, 0x3ee437d1, v59
	v_fma_f32 v10, v58, s8, -v10
	v_add_f32_e32 v9, v60, v9
	v_mov_b32_e32 v60, v12
	v_add_f32_e32 v10, v10, v14
	v_fmac_f32_e32 v12, 0x3f65296c, v0
	v_mul_f32_e32 v14, 0xbf7ee86f, v1
	v_add_f32_e32 v12, v12, v15
	v_mov_b32_e32 v15, v14
	v_fmac_f32_e32 v15, 0x3dbcf732, v58
	;; [unrolled: 12-line block ×3, first 2 shown]
	v_fmac_f32_e32 v60, 0x3f7ee86f, v0
	v_add_f32_e32 v35, v35, v36
	v_mul_f32_e32 v36, 0xbf1a4643, v59
	v_fma_f32 v34, v58, s15, -v34
	v_add_f32_e32 v33, v60, v33
	v_mov_b32_e32 v60, v36
	v_add_f32_e32 v34, v34, v38
	v_fmac_f32_e32 v36, 0x3f4c4adb, v0
	v_mul_f32_e32 v38, 0xbeb8f4ab, v1
	v_add_f32_e32 v36, v36, v39
	v_mov_b32_e32 v39, v38
	v_add_f32_e32 v40, v40, v74
	v_fmac_f32_e32 v60, 0xbf4c4adb, v0
	v_fmac_f32_e32 v39, 0x3f6eb680, v58
	v_add_f32_e32 v37, v60, v37
	v_add_f32_e32 v60, v39, v40
	v_mul_f32_e32 v39, 0x3f6eb680, v59
	v_mov_b32_e32 v40, v39
	v_fmac_f32_e32 v39, 0xbeb8f4ab, v0
	v_add_f32_e32 v47, v47, v66
	v_fmac_f32_e32 v40, 0x3eb8f4ab, v0
	v_add_f32_e32 v66, v39, v43
	v_mul_f32_e32 v39, 0xbe3c28d5, v1
	v_add_f32_e32 v44, v44, v61
	v_add_f32_e32 v61, v40, v41
	v_mov_b32_e32 v40, v39
	v_fmac_f32_e32 v40, 0xbf7ba420, v58
	v_add_f32_e32 v50, v50, v67
	v_add_f32_e32 v67, v40, v44
	v_mul_f32_e32 v40, 0xbf7ba420, v59
	v_fma_f32 v39, v58, s17, -v39
	v_add_f32_e32 v48, v48, v69
	v_mov_b32_e32 v41, v40
	v_add_f32_e32 v69, v39, v46
	v_fmac_f32_e32 v40, 0xbe3c28d5, v0
	v_mul_f32_e32 v39, 0x3f2c7751, v1
	v_add_f32_e32 v53, v53, v70
	v_add_f32_e32 v70, v40, v47
	v_mov_b32_e32 v40, v39
	v_fma_f32 v39, v58, s7, -v39
	v_mul_f32_e32 v1, 0xbf763a35, v1
	v_fmac_f32_e32 v40, 0x3f3d2fb0, v58
	v_add_f32_e32 v50, v39, v50
	v_mov_b32_e32 v39, v1
	v_add_f32_e32 v45, v45, v71
	v_fmac_f32_e32 v41, 0x3e3c28d5, v0
	v_add_f32_e32 v71, v40, v48
	v_mul_f32_e32 v40, 0x3f3d2fb0, v59
	v_fmac_f32_e32 v39, 0xbe8c1d8e, v58
	v_add_f32_e32 v51, v51, v68
	v_add_f32_e32 v68, v41, v45
	v_mov_b32_e32 v41, v40
	v_fmac_f32_e32 v40, 0x3f2c7751, v0
	v_add_f32_e32 v53, v39, v53
	v_mul_f32_e32 v39, 0xbe8c1d8e, v59
	v_add_f32_e32 v49, v49, v73
	v_add_f32_e32 v51, v40, v51
	v_mov_b32_e32 v40, v39
	v_sub_f32_e32 v73, v3, v5
	v_add_f32_e32 v56, v56, v76
	v_fmac_f32_e32 v41, 0xbf2c7751, v0
	v_fmac_f32_e32 v40, 0x3f763a35, v0
	v_fma_f32 v1, v58, s14, -v1
	v_fmac_f32_e32 v39, 0xbf763a35, v0
	v_mul_f32_e32 v0, 0xbe3c28d5, v73
	v_fma_f32 v38, v58, s6, -v38
	v_add_f32_e32 v56, v1, v56
	v_add_f32_e32 v58, v4, v2
	v_mov_b32_e32 v1, v0
	v_add_f32_e32 v59, v5, v3
	v_fmac_f32_e32 v1, 0xbf7ba420, v58
	v_add_f32_e32 v57, v39, v57
	v_add_f32_e32 v39, v1, v7
	v_mul_f32_e32 v1, 0xbf7ba420, v59
	v_add_f32_e32 v55, v55, v72
	v_sub_f32_e32 v72, v2, v4
	v_mov_b32_e32 v2, v1
	v_fmac_f32_e32 v2, 0x3e3c28d5, v72
	v_add_f32_e32 v55, v40, v55
	v_add_f32_e32 v40, v2, v9
	v_mul_f32_e32 v2, 0x3eb8f4ab, v73
	v_mov_b32_e32 v3, v2
	v_fmac_f32_e32 v3, 0x3f6eb680, v58
	v_add_f32_e32 v49, v41, v49
	v_add_f32_e32 v41, v3, v11
	v_mul_f32_e32 v3, 0x3f6eb680, v59
	v_mov_b32_e32 v4, v3
	v_add_f32_e32 v42, v42, v75
	v_fmac_f32_e32 v4, 0xbeb8f4ab, v72
	v_add_f32_e32 v38, v38, v42
	v_add_f32_e32 v42, v4, v13
	v_mul_f32_e32 v4, 0xbf06c442, v73
	v_mov_b32_e32 v5, v4
	v_fmac_f32_e32 v5, 0xbf59a7d5, v58
	v_fma_f32 v0, v58, s17, -v0
	v_add_f32_e32 v43, v5, v15
	v_mul_f32_e32 v5, 0xbf59a7d5, v59
	v_add_f32_e32 v0, v0, v6
	v_mov_b32_e32 v6, v5
	v_fmac_f32_e32 v6, 0x3f06c442, v72
	v_add_f32_e32 v44, v6, v33
	v_mul_f32_e32 v6, 0x3f2c7751, v73
	v_mov_b32_e32 v7, v6
	v_fmac_f32_e32 v7, 0x3f3d2fb0, v58
	v_fmac_f32_e32 v1, 0xbe3c28d5, v72
	v_add_f32_e32 v45, v7, v35
	v_mul_f32_e32 v7, 0x3f3d2fb0, v59
	v_add_f32_e32 v1, v1, v8
	v_mov_b32_e32 v8, v7
	v_fmac_f32_e32 v8, 0xbf2c7751, v72
	v_add_f32_e32 v46, v8, v37
	v_mul_f32_e32 v8, 0xbf4c4adb, v73
	v_mov_b32_e32 v9, v8
	v_fmac_f32_e32 v9, 0xbf1a4643, v58
	v_fma_f32 v2, v58, s6, -v2
	v_add_f32_e32 v47, v9, v60
	v_mul_f32_e32 v9, 0xbf1a4643, v59
	v_add_f32_e32 v2, v2, v10
	v_mov_b32_e32 v10, v9
	v_fmac_f32_e32 v10, 0x3f4c4adb, v72
	v_add_f32_e32 v48, v10, v61
	v_mul_f32_e32 v10, 0x3f65296c, v73
	v_mov_b32_e32 v11, v10
	v_fma_f32 v6, v58, s7, -v6
	v_fmac_f32_e32 v11, 0x3ee437d1, v58
	v_fmac_f32_e32 v3, 0x3eb8f4ab, v72
	v_add_f32_e32 v6, v6, v34
	v_add_f32_e32 v34, v11, v67
	v_mul_f32_e32 v11, 0x3ee437d1, v59
	v_add_f32_e32 v3, v3, v12
	v_mov_b32_e32 v12, v11
	v_fmac_f32_e32 v12, 0xbf65296c, v72
	v_add_f32_e32 v35, v12, v68
	v_mul_f32_e32 v12, 0xbf763a35, v73
	v_mov_b32_e32 v13, v12
	v_fmac_f32_e32 v7, 0x3f2c7751, v72
	v_fmac_f32_e32 v13, 0xbe8c1d8e, v58
	v_fma_f32 v4, v58, s16, -v4
	v_add_f32_e32 v7, v7, v36
	v_add_f32_e32 v36, v13, v71
	v_mul_f32_e32 v13, 0xbe8c1d8e, v59
	v_add_f32_e32 v4, v4, v14
	v_fmac_f32_e32 v5, 0xbf06c442, v72
	v_mov_b32_e32 v14, v13
	v_add_f32_e32 v5, v5, v32
	v_fmac_f32_e32 v14, 0x3f763a35, v72
	v_mul_f32_e32 v32, 0x3f7ee86f, v73
	v_mul_f32_e32 v33, 0x3dbcf732, v59
	v_fma_f32 v8, v58, s15, -v8
	v_add_f32_e32 v37, v14, v49
	v_mov_b32_e32 v14, v32
	v_mov_b32_e32 v15, v33
	s_movk_i32 s2, 0x88
	v_add_f32_e32 v8, v8, v38
	v_fmac_f32_e32 v9, 0xbf4c4adb, v72
	v_fma_f32 v10, v58, s8, -v10
	v_fmac_f32_e32 v11, 0x3f65296c, v72
	v_fma_f32 v12, v58, s14, -v12
	v_fmac_f32_e32 v13, 0xbf763a35, v72
	v_fmac_f32_e32 v14, 0x3dbcf732, v58
	;; [unrolled: 1-line block ×3, first 2 shown]
	v_fma_f32 v32, v58, s9, -v32
	v_fmac_f32_e32 v33, 0x3f7ee86f, v72
	v_mad_u32_u24 v38, v18, s2, v62
	v_add_f32_e32 v9, v9, v66
	v_add_f32_e32 v10, v10, v69
	;; [unrolled: 1-line block ×9, first 2 shown]
	s_barrier
	ds_write2_b64 v38, v[30:31], v[39:40] offset1:1
	ds_write2_b64 v38, v[41:42], v[43:44] offset0:2 offset1:3
	ds_write2_b64 v38, v[45:46], v[47:48] offset0:4 offset1:5
	;; [unrolled: 1-line block ×7, first 2 shown]
	ds_write_b64 v38, v[0:1] offset:128
	v_subrev_u32_e32 v31, 17, v18
	v_cmp_gt_u32_e32 vcc, 17, v18
	v_cndmask_b32_e32 v30, v31, v18, vcc
	v_lshlrev_b32_e32 v32, 4, v30
	v_mov_b32_e32 v33, 0
	v_lshlrev_b64 v[0:1], 3, v[32:33]
	v_mov_b32_e32 v2, s13
	v_add_co_u32_e64 v0, s[2:3], s12, v0
	v_addc_co_u32_e64 v1, s[2:3], v2, v1, s[2:3]
	s_waitcnt lgkmcnt(0)
	s_barrier
	global_load_dwordx4 v[3:6], v[0:1], off offset:64
	global_load_dwordx4 v[7:10], v[0:1], off offset:80
	;; [unrolled: 1-line block ×4, first 2 shown]
	global_load_dwordx4 v[44:47], v[0:1], off
	global_load_dwordx4 v[48:51], v[0:1], off offset:16
	global_load_dwordx4 v[93:96], v[0:1], off offset:32
	;; [unrolled: 1-line block ×3, first 2 shown]
	ds_read2_b64 v[11:14], v54 offset0:50 offset1:84
	ds_read2_b64 v[55:58], v54 offset0:118 offset1:152
	ds_read2_b64 v[66:69], v54 offset0:186 offset1:220
	v_lshl_add_u32 v72, v29, 3, v62
	v_lshl_add_u32 v73, v28, 3, v62
	;; [unrolled: 1-line block ×4, first 2 shown]
	v_cmp_lt_u32_e64 s[2:3], 16, v18
	v_lshlrev_b32_e32 v30, 3, v30
	s_waitcnt vmcnt(7) lgkmcnt(2)
	v_mul_f32_e32 v2, v12, v4
	v_mul_f32_e32 v0, v11, v4
	v_fmac_f32_e32 v2, v11, v3
	v_fma_f32 v3, v12, v3, -v0
	v_mul_f32_e32 v12, v14, v6
	v_mul_f32_e32 v0, v13, v6
	v_fmac_f32_e32 v12, v13, v5
	v_fma_f32 v13, v14, v5, -v0
	s_waitcnt vmcnt(6) lgkmcnt(1)
	v_mul_f32_e32 v38, v56, v8
	v_mul_f32_e32 v0, v55, v8
	v_fmac_f32_e32 v38, v55, v7
	v_fma_f32 v39, v56, v7, -v0
	ds_read2_b64 v[4:7], v19 offset0:126 offset1:160
	v_mul_f32_e32 v0, v57, v10
	v_fma_f32 v92, v58, v9, -v0
	s_waitcnt vmcnt(5) lgkmcnt(1)
	v_mul_f32_e32 v0, v66, v35
	v_fma_f32 v83, v67, v34, -v0
	v_mul_f32_e32 v0, v68, v37
	v_mul_f32_e32 v86, v58, v10
	v_fma_f32 v60, v69, v36, -v0
	s_waitcnt vmcnt(4) lgkmcnt(0)
	v_mul_f32_e32 v0, v4, v41
	v_fmac_f32_e32 v86, v57, v9
	v_mul_f32_e32 v53, v5, v41
	v_fma_f32 v57, v5, v40, -v0
	v_mul_f32_e32 v10, v7, v43
	v_mul_f32_e32 v0, v6, v43
	v_fmac_f32_e32 v53, v4, v40
	v_fmac_f32_e32 v10, v6, v42
	v_fma_f32 v11, v7, v42, -v0
	ds_read_b64 v[0:1], v72
	ds_read_b64 v[4:5], v73
	;; [unrolled: 1-line block ×3, first 2 shown]
	v_mul_f32_e32 v58, v69, v37
	v_lshl_add_u32 v69, v26, 3, v62
	s_waitcnt vmcnt(3) lgkmcnt(2)
	v_mul_f32_e32 v14, v45, v1
	v_fmac_f32_e32 v14, v44, v0
	v_mul_f32_e32 v0, v45, v0
	v_fma_f32 v15, v44, v1, -v0
	s_waitcnt lgkmcnt(1)
	v_mul_f32_e32 v0, v47, v4
	v_fma_f32 v88, v46, v5, -v0
	s_waitcnt vmcnt(2) lgkmcnt(0)
	v_mul_f32_e32 v0, v6, v49
	ds_read_b64 v[55:56], v63
	v_fma_f32 v77, v7, v48, -v0
	ds_read_b64 v[0:1], v69
	v_mul_f32_e32 v87, v47, v5
	v_mul_f32_e32 v59, v7, v49
	;; [unrolled: 1-line block ×3, first 2 shown]
	v_fmac_f32_e32 v58, v68, v36
	v_fmac_f32_e32 v87, v46, v4
	;; [unrolled: 1-line block ×3, first 2 shown]
	v_lshl_add_u32 v68, v24, 3, v62
	v_lshl_add_u32 v67, v23, 3, v62
	ds_read_b64 v[4:5], v70
	ds_read_b64 v[6:7], v68
	;; [unrolled: 1-line block ×3, first 2 shown]
	s_waitcnt lgkmcnt(3)
	v_mul_f32_e32 v81, v1, v51
	v_fmac_f32_e32 v81, v0, v50
	v_mul_f32_e32 v0, v0, v51
	v_fma_f32 v85, v1, v50, -v0
	s_waitcnt vmcnt(1) lgkmcnt(2)
	v_mul_f32_e32 v91, v5, v94
	v_mul_f32_e32 v0, v4, v94
	v_fmac_f32_e32 v78, v66, v34
	v_fmac_f32_e32 v91, v4, v93
	v_fma_f32 v93, v5, v93, -v0
	s_waitcnt lgkmcnt(1)
	v_mul_f32_e32 v0, v6, v96
	v_lshl_add_u32 v66, v22, 3, v62
	v_fma_f32 v90, v7, v95, -v0
	ds_read_b64 v[0:1], v66
	s_waitcnt vmcnt(0) lgkmcnt(1)
	v_mul_f32_e32 v4, v8, v98
	v_fma_f32 v35, v9, v97, -v4
	v_mul_f32_e32 v89, v7, v96
	v_fmac_f32_e32 v89, v6, v95
	s_waitcnt lgkmcnt(0)
	v_mul_f32_e32 v4, v1, v100
	v_fmac_f32_e32 v4, v0, v99
	v_mul_f32_e32 v0, v0, v100
	v_fma_f32 v5, v1, v99, -v0
	v_add_f32_e32 v0, v14, v55
	v_add_f32_e32 v0, v0, v87
	;; [unrolled: 1-line block ×7, first 2 shown]
	v_mul_f32_e32 v34, v9, v98
	v_add_f32_e32 v1, v1, v85
	v_add_f32_e32 v0, v0, v91
	v_fmac_f32_e32 v34, v8, v97
	v_add_f32_e32 v1, v1, v93
	v_add_f32_e32 v0, v0, v89
	;; [unrolled: 1-line block ×14, first 2 shown]
	v_sub_f32_e32 v9, v15, v11
	v_add_f32_e32 v1, v1, v92
	v_add_f32_e32 v0, v0, v78
	;; [unrolled: 1-line block ×3, first 2 shown]
	v_mul_f32_e32 v37, 0xbf7ee86f, v9
	v_add_f32_e32 v1, v1, v83
	v_add_f32_e32 v0, v0, v58
	v_mov_b32_e32 v40, v37
	v_fma_f32 v41, v6, s9, -v37
	v_mul_f32_e32 v37, 0xbf763a35, v9
	v_add_f32_e32 v1, v1, v60
	v_add_f32_e32 v0, v0, v53
	v_mov_b32_e32 v44, v37
	v_fma_f32 v46, v6, s14, -v37
	v_mul_f32_e32 v37, 0xbf4c4adb, v9
	v_add_f32_e32 v1, v1, v57
	v_add_f32_e32 v0, v0, v10
	v_sub_f32_e32 v7, v14, v10
	v_mul_f32_e32 v10, 0xbeb8f4ab, v9
	v_mul_f32_e32 v14, 0xbf2c7751, v9
	;; [unrolled: 1-line block ×3, first 2 shown]
	v_mov_b32_e32 v47, v37
	v_fma_f32 v48, v6, s15, -v37
	v_mul_f32_e32 v37, 0xbf06c442, v9
	v_mul_f32_e32 v9, 0xbe3c28d5, v9
	v_add_f32_e32 v1, v1, v11
	v_add_f32_e32 v8, v15, v11
	v_mov_b32_e32 v11, v10
	v_mov_b32_e32 v15, v14
	;; [unrolled: 1-line block ×5, first 2 shown]
	v_fmac_f32_e32 v11, 0x3f6eb680, v6
	v_fma_f32 v10, v6, s6, -v10
	v_fmac_f32_e32 v15, 0x3f3d2fb0, v6
	v_fma_f32 v14, v6, s7, -v14
	;; [unrolled: 2-line block ×3, first 2 shown]
	v_fmac_f32_e32 v40, 0x3dbcf732, v6
	v_fmac_f32_e32 v44, 0xbe8c1d8e, v6
	;; [unrolled: 1-line block ×4, first 2 shown]
	v_fma_f32 v50, v6, s16, -v37
	v_fmac_f32_e32 v51, 0xbf7ba420, v6
	v_fma_f32 v94, v6, s17, -v9
	v_mul_f32_e32 v6, 0x3f6eb680, v8
	v_mul_f32_e32 v37, 0x3f3d2fb0, v8
	;; [unrolled: 1-line block ×8, first 2 shown]
	v_mov_b32_e32 v9, v6
	v_mov_b32_e32 v42, v37
	;; [unrolled: 1-line block ×8, first 2 shown]
	v_fmac_f32_e32 v9, 0x3eb8f4ab, v7
	v_fmac_f32_e32 v6, 0xbeb8f4ab, v7
	;; [unrolled: 1-line block ×16, first 2 shown]
	v_add_f32_e32 v105, v11, v55
	v_add_f32_e32 v106, v9, v56
	;; [unrolled: 1-line block ×25, first 2 shown]
	v_sub_f32_e32 v56, v88, v57
	v_add_f32_e32 v7, v41, v55
	v_add_f32_e32 v41, v47, v55
	;; [unrolled: 1-line block ×4, first 2 shown]
	v_sub_f32_e32 v53, v87, v53
	v_mul_f32_e32 v87, 0xbf2c7751, v56
	v_add_f32_e32 v80, v15, v55
	v_add_f32_e32 v49, v49, v55
	;; [unrolled: 1-line block ×5, first 2 shown]
	v_mov_b32_e32 v57, v87
	v_fmac_f32_e32 v57, 0x3f3d2fb0, v51
	v_mul_f32_e32 v88, 0x3f3d2fb0, v55
	v_add_f32_e32 v95, v57, v105
	v_mov_b32_e32 v57, v88
	v_fmac_f32_e32 v57, 0x3f2c7751, v53
	v_add_f32_e32 v96, v57, v106
	v_add_f32_e32 v57, v59, v58
	v_sub_f32_e32 v58, v59, v58
	v_add_f32_e32 v59, v77, v60
	v_sub_f32_e32 v60, v77, v60
	v_mul_f32_e32 v94, 0xbf65296c, v60
	v_mov_b32_e32 v77, v94
	v_fmac_f32_e32 v77, 0x3ee437d1, v57
	v_add_f32_e32 v97, v77, v95
	v_mul_f32_e32 v95, 0x3ee437d1, v59
	v_mov_b32_e32 v77, v95
	v_fmac_f32_e32 v77, 0x3f65296c, v58
	v_add_f32_e32 v96, v77, v96
	v_add_f32_e32 v77, v81, v78
	v_sub_f32_e32 v78, v81, v78
	v_add_f32_e32 v81, v85, v83
	v_sub_f32_e32 v83, v85, v83
	v_mul_f32_e32 v99, 0xbf7ee86f, v83
	v_mov_b32_e32 v85, v99
	v_fmac_f32_e32 v85, 0x3dbcf732, v77
	v_mul_f32_e32 v100, 0x3dbcf732, v81
	v_add_f32_e32 v97, v85, v97
	v_mov_b32_e32 v85, v100
	v_fmac_f32_e32 v85, 0x3f7ee86f, v78
	v_add_f32_e32 v96, v85, v96
	v_add_f32_e32 v85, v91, v86
	v_sub_f32_e32 v86, v91, v86
	v_add_f32_e32 v91, v93, v92
	v_sub_f32_e32 v92, v93, v92
	v_mul_f32_e32 v105, 0xbf763a35, v92
	v_mov_b32_e32 v93, v105
	v_fmac_f32_e32 v93, 0xbe8c1d8e, v85
	v_mul_f32_e32 v106, 0xbe8c1d8e, v91
	v_add_f32_e32 v97, v93, v97
	v_mov_b32_e32 v93, v106
	v_fmac_f32_e32 v93, 0x3f763a35, v86
	v_add_f32_e32 v98, v93, v96
	v_add_f32_e32 v96, v90, v39
	v_sub_f32_e32 v90, v90, v39
	v_mul_f32_e32 v109, 0xbf4c4adb, v90
	v_mul_f32_e32 v110, 0xbf1a4643, v96
	v_add_f32_e32 v93, v89, v38
	v_sub_f32_e32 v89, v89, v38
	v_mov_b32_e32 v38, v109
	v_mov_b32_e32 v39, v110
	v_fmac_f32_e32 v38, 0xbf1a4643, v93
	v_fmac_f32_e32 v39, 0x3f4c4adb, v89
	v_sub_f32_e32 v102, v35, v13
	v_add_f32_e32 v38, v38, v97
	v_add_f32_e32 v39, v39, v98
	;; [unrolled: 1-line block ×3, first 2 shown]
	v_sub_f32_e32 v98, v34, v12
	v_mul_f32_e32 v12, 0xbf06c442, v102
	v_sub_f32_e32 v108, v5, v3
	v_add_f32_e32 v101, v35, v13
	v_mov_b32_e32 v13, v12
	v_add_f32_e32 v103, v4, v2
	v_sub_f32_e32 v104, v4, v2
	v_mul_f32_e32 v2, 0xbe3c28d5, v108
	v_fmac_f32_e32 v13, 0xbf59a7d5, v97
	v_add_f32_e32 v107, v5, v3
	v_mov_b32_e32 v3, v2
	v_add_f32_e32 v13, v13, v38
	v_mul_f32_e32 v34, 0xbf59a7d5, v101
	v_fmac_f32_e32 v3, 0xbf7ba420, v103
	v_mov_b32_e32 v35, v34
	v_add_f32_e32 v38, v3, v13
	v_mul_f32_e32 v3, 0xbf7ba420, v107
	v_fmac_f32_e32 v35, 0x3f06c442, v98
	v_mov_b32_e32 v4, v3
	v_add_f32_e32 v35, v35, v39
	v_fmac_f32_e32 v4, 0x3e3c28d5, v104
	v_add_f32_e32 v39, v4, v35
	v_fma_f32 v4, v51, s7, -v87
	v_add_f32_e32 v4, v4, v84
	v_fmac_f32_e32 v88, 0xbf2c7751, v53
	v_fma_f32 v13, v57, s8, -v94
	v_add_f32_e32 v5, v88, v82
	v_add_f32_e32 v4, v13, v4
	v_fmac_f32_e32 v95, 0xbf65296c, v58
	v_fma_f32 v13, v77, s9, -v99
	v_add_f32_e32 v5, v95, v5
	;; [unrolled: 4-line block ×6, first 2 shown]
	v_add_f32_e32 v34, v2, v4
	v_fmac_f32_e32 v3, 0xbe3c28d5, v104
	v_mul_f32_e32 v4, 0x3dbcf732, v55
	v_add_f32_e32 v35, v3, v5
	v_mov_b32_e32 v5, v4
	v_mul_f32_e32 v2, 0xbf7ee86f, v56
	v_fmac_f32_e32 v5, 0x3f7ee86f, v53
	v_mov_b32_e32 v3, v2
	v_add_f32_e32 v5, v5, v79
	v_mul_f32_e32 v79, 0xbf4c4adb, v60
	v_fmac_f32_e32 v3, 0x3dbcf732, v51
	v_mov_b32_e32 v12, v79
	v_add_f32_e32 v3, v3, v80
	v_fmac_f32_e32 v12, 0xbf1a4643, v57
	v_mul_f32_e32 v80, 0xbf1a4643, v59
	v_add_f32_e32 v3, v12, v3
	v_mov_b32_e32 v12, v80
	v_fmac_f32_e32 v12, 0x3f4c4adb, v58
	v_mul_f32_e32 v82, 0xbe3c28d5, v83
	v_add_f32_e32 v5, v12, v5
	v_mov_b32_e32 v12, v82
	;; [unrolled: 4-line block ×10, first 2 shown]
	v_fmac_f32_e32 v12, 0x3f6eb680, v103
	v_add_f32_e32 v12, v12, v3
	v_mul_f32_e32 v3, 0x3f6eb680, v107
	v_mov_b32_e32 v13, v3
	v_fmac_f32_e32 v4, 0xbf7ee86f, v53
	v_fmac_f32_e32 v13, 0xbeb8f4ab, v104
	v_fma_f32 v2, v51, s9, -v2
	v_add_f32_e32 v4, v4, v75
	v_fmac_f32_e32 v80, 0xbf4c4adb, v58
	v_add_f32_e32 v13, v13, v5
	v_add_f32_e32 v2, v2, v76
	v_fma_f32 v5, v57, s15, -v79
	v_add_f32_e32 v4, v80, v4
	v_fmac_f32_e32 v84, 0xbe3c28d5, v78
	v_add_f32_e32 v2, v5, v2
	v_fma_f32 v5, v77, s17, -v82
	v_add_f32_e32 v4, v84, v4
	v_fmac_f32_e32 v88, 0x3f06c442, v86
	;; [unrolled: 4-line block ×5, first 2 shown]
	v_add_f32_e32 v2, v5, v2
	v_fma_f32 v5, v103, s6, -v105
	v_add_f32_e32 v3, v3, v4
	v_mul_f32_e32 v4, 0xbf4c4adb, v56
	v_add_f32_e32 v2, v5, v2
	v_mov_b32_e32 v5, v4
	v_fmac_f32_e32 v5, 0xbf1a4643, v51
	v_mul_f32_e32 v75, 0xbf1a4643, v55
	v_add_f32_e32 v5, v5, v43
	v_mov_b32_e32 v43, v75
	v_fmac_f32_e32 v43, 0x3f4c4adb, v53
	;; [unrolled: 4-line block ×11, first 2 shown]
	v_mul_f32_e32 v99, 0x3dbcf732, v101
	v_fmac_f32_e32 v75, 0xbf4c4adb, v53
	v_add_f32_e32 v5, v43, v5
	v_mov_b32_e32 v43, v99
	v_fma_f32 v4, v51, s15, -v4
	v_add_f32_e32 v61, v75, v61
	v_fmac_f32_e32 v79, 0x3e3c28d5, v58
	v_fmac_f32_e32 v43, 0x3f7ee86f, v98
	v_mul_f32_e32 v100, 0xbf06c442, v108
	v_add_f32_e32 v4, v4, v74
	v_fma_f32 v74, v57, s17, -v76
	v_add_f32_e32 v61, v79, v61
	v_fmac_f32_e32 v82, 0x3f763a35, v78
	v_add_f32_e32 v43, v43, v42
	v_mov_b32_e32 v42, v100
	v_add_f32_e32 v4, v74, v4
	v_fma_f32 v74, v77, s14, -v80
	v_add_f32_e32 v61, v82, v61
	v_fmac_f32_e32 v87, 0x3f2c7751, v86
	v_fmac_f32_e32 v42, 0xbf59a7d5, v103
	v_add_f32_e32 v4, v74, v4
	v_fma_f32 v74, v85, s7, -v84
	v_add_f32_e32 v61, v87, v61
	v_fmac_f32_e32 v94, 0xbeb8f4ab, v89
	v_add_f32_e32 v42, v42, v5
	v_mul_f32_e32 v5, 0xbf59a7d5, v107
	v_add_f32_e32 v4, v74, v4
	v_fma_f32 v74, v93, s6, -v88
	v_add_f32_e32 v61, v94, v61
	v_fmac_f32_e32 v99, 0xbf7ee86f, v98
	v_mov_b32_e32 v105, v5
	v_add_f32_e32 v4, v74, v4
	v_fma_f32 v74, v97, s9, -v95
	v_add_f32_e32 v61, v99, v61
	v_fmac_f32_e32 v5, 0xbf06c442, v104
	v_add_f32_e32 v4, v74, v4
	v_fma_f32 v74, v103, s16, -v100
	v_add_f32_e32 v5, v5, v61
	v_mul_f32_e32 v61, 0xbe3c28d5, v56
	v_add_f32_e32 v4, v74, v4
	v_mov_b32_e32 v74, v61
	v_fmac_f32_e32 v74, 0xbf7ba420, v51
	v_add_f32_e32 v37, v74, v37
	v_mul_f32_e32 v74, 0xbf7ba420, v55
	v_mov_b32_e32 v75, v74
	v_fmac_f32_e32 v75, 0x3e3c28d5, v53
	v_add_f32_e32 v36, v75, v36
	v_mul_f32_e32 v75, 0x3f763a35, v60
	;; [unrolled: 4-line block ×10, first 2 shown]
	v_mov_b32_e32 v95, v94
	v_fmac_f32_e32 v95, 0xbf1a4643, v97
	v_fma_f32 v61, v51, s17, -v61
	v_fmac_f32_e32 v74, 0xbe3c28d5, v53
	v_add_f32_e32 v37, v95, v37
	v_mul_f32_e32 v95, 0xbf1a4643, v101
	v_add_f32_e32 v7, v61, v7
	v_add_f32_e32 v6, v74, v6
	v_fma_f32 v61, v57, s14, -v75
	v_fmac_f32_e32 v76, 0x3f763a35, v58
	v_mov_b32_e32 v99, v95
	v_add_f32_e32 v7, v61, v7
	v_add_f32_e32 v6, v76, v6
	v_fma_f32 v61, v77, s6, -v79
	v_fmac_f32_e32 v80, 0x3eb8f4ab, v78
	v_fmac_f32_e32 v99, 0xbf4c4adb, v98
	v_mul_f32_e32 v100, 0x3f2c7751, v108
	v_add_f32_e32 v7, v61, v7
	v_add_f32_e32 v6, v80, v6
	v_fma_f32 v61, v85, s8, -v82
	v_fmac_f32_e32 v84, 0xbf65296c, v86
	v_fmac_f32_e32 v105, 0x3f06c442, v104
	v_add_f32_e32 v99, v99, v36
	v_mov_b32_e32 v36, v100
	v_add_f32_e32 v7, v61, v7
	v_add_f32_e32 v6, v84, v6
	v_fma_f32 v61, v93, s16, -v87
	v_fmac_f32_e32 v88, 0xbf06c442, v89
	v_add_f32_e32 v43, v105, v43
	v_fmac_f32_e32 v36, 0x3f3d2fb0, v103
	v_mul_f32_e32 v105, 0x3f3d2fb0, v107
	v_add_f32_e32 v7, v61, v7
	v_add_f32_e32 v6, v88, v6
	v_fma_f32 v61, v97, s15, -v94
	v_fmac_f32_e32 v95, 0x3f4c4adb, v98
	v_add_f32_e32 v36, v36, v37
	v_mov_b32_e32 v37, v105
	v_add_f32_e32 v7, v61, v7
	v_add_f32_e32 v61, v95, v6
	v_fma_f32 v6, v103, s7, -v100
	v_fmac_f32_e32 v105, 0x3f2c7751, v104
	v_add_f32_e32 v6, v6, v7
	v_add_f32_e32 v7, v105, v61
	v_mul_f32_e32 v61, 0x3f06c442, v56
	v_mov_b32_e32 v74, v61
	v_fmac_f32_e32 v74, 0xbf59a7d5, v51
	v_add_f32_e32 v45, v74, v45
	v_mul_f32_e32 v74, 0xbf59a7d5, v55
	v_mov_b32_e32 v75, v74
	v_fmac_f32_e32 v75, 0xbf06c442, v53
	;; [unrolled: 4-line block ×11, first 2 shown]
	v_fma_f32 v61, v51, s16, -v61
	v_fmac_f32_e32 v74, 0x3f06c442, v53
	v_fmac_f32_e32 v37, 0xbf2c7751, v104
	v_add_f32_e32 v45, v95, v45
	v_mul_f32_e32 v95, 0x3f6eb680, v101
	v_add_f32_e32 v9, v61, v9
	v_add_f32_e32 v8, v74, v8
	v_fma_f32 v61, v57, s7, -v75
	v_fmac_f32_e32 v76, 0x3f2c7751, v58
	v_add_f32_e32 v37, v37, v99
	v_mov_b32_e32 v99, v95
	v_add_f32_e32 v9, v61, v9
	v_add_f32_e32 v8, v76, v8
	v_fma_f32 v61, v77, s8, -v79
	v_fmac_f32_e32 v80, 0xbf65296c, v78
	v_fmac_f32_e32 v99, 0x3eb8f4ab, v98
	v_mul_f32_e32 v100, 0xbf4c4adb, v108
	v_add_f32_e32 v9, v61, v9
	v_add_f32_e32 v8, v80, v8
	v_fma_f32 v61, v85, s17, -v82
	v_fmac_f32_e32 v84, 0xbe3c28d5, v86
	v_add_f32_e32 v99, v99, v44
	v_mov_b32_e32 v44, v100
	v_add_f32_e32 v9, v61, v9
	v_add_f32_e32 v8, v84, v8
	v_fma_f32 v61, v93, s9, -v87
	v_fmac_f32_e32 v88, 0x3f7ee86f, v89
	v_fmac_f32_e32 v44, 0xbf1a4643, v103
	v_mul_f32_e32 v105, 0xbf1a4643, v107
	v_add_f32_e32 v9, v61, v9
	v_add_f32_e32 v8, v88, v8
	v_fma_f32 v61, v97, s6, -v94
	v_fmac_f32_e32 v95, 0xbeb8f4ab, v98
	v_add_f32_e32 v44, v44, v45
	v_mov_b32_e32 v45, v105
	v_add_f32_e32 v9, v61, v9
	v_add_f32_e32 v61, v95, v8
	v_fma_f32 v8, v103, s15, -v100
	v_fmac_f32_e32 v105, 0xbf4c4adb, v104
	v_add_f32_e32 v8, v8, v9
	v_add_f32_e32 v9, v105, v61
	v_mul_f32_e32 v61, 0x3f763a35, v56
	v_mov_b32_e32 v74, v61
	v_fmac_f32_e32 v74, 0xbe8c1d8e, v51
	v_add_f32_e32 v41, v74, v41
	v_mul_f32_e32 v74, 0xbe8c1d8e, v55
	v_mov_b32_e32 v75, v74
	v_fmac_f32_e32 v75, 0xbf763a35, v53
	;; [unrolled: 4-line block ×11, first 2 shown]
	v_fma_f32 v61, v51, s14, -v61
	v_fmac_f32_e32 v74, 0x3f763a35, v53
	v_fmac_f32_e32 v45, 0x3f4c4adb, v104
	v_add_f32_e32 v41, v95, v41
	v_mul_f32_e32 v95, 0xbf7ba420, v101
	v_add_f32_e32 v11, v61, v11
	v_add_f32_e32 v10, v74, v10
	v_fma_f32 v61, v57, s6, -v75
	v_fmac_f32_e32 v76, 0xbeb8f4ab, v58
	v_add_f32_e32 v45, v45, v99
	v_mov_b32_e32 v99, v95
	v_add_f32_e32 v11, v61, v11
	v_add_f32_e32 v10, v76, v10
	v_fma_f32 v61, v77, s16, -v79
	v_fmac_f32_e32 v80, 0xbf06c442, v78
	v_fmac_f32_e32 v99, 0x3e3c28d5, v98
	v_mul_f32_e32 v100, 0x3f65296c, v108
	v_add_f32_e32 v11, v61, v11
	v_add_f32_e32 v10, v80, v10
	v_fma_f32 v61, v85, s9, -v82
	v_fmac_f32_e32 v84, 0x3f7ee86f, v86
	v_add_f32_e32 v99, v99, v40
	v_mov_b32_e32 v40, v100
	v_add_f32_e32 v11, v61, v11
	v_add_f32_e32 v10, v84, v10
	v_fma_f32 v61, v93, s7, -v87
	v_fmac_f32_e32 v88, 0xbf2c7751, v89
	v_fmac_f32_e32 v40, 0x3ee437d1, v103
	v_mul_f32_e32 v105, 0x3ee437d1, v107
	v_add_f32_e32 v11, v61, v11
	v_add_f32_e32 v10, v88, v10
	v_fma_f32 v61, v97, s17, -v94
	v_fmac_f32_e32 v95, 0xbe3c28d5, v98
	v_add_f32_e32 v40, v40, v41
	v_mov_b32_e32 v41, v105
	v_add_f32_e32 v11, v61, v11
	v_add_f32_e32 v61, v95, v10
	v_fma_f32 v10, v103, s8, -v100
	v_fmac_f32_e32 v105, 0x3f65296c, v104
	v_add_f32_e32 v10, v10, v11
	v_add_f32_e32 v11, v105, v61
	v_mul_f32_e32 v61, 0x3f65296c, v56
	v_mov_b32_e32 v74, v61
	v_fmac_f32_e32 v74, 0x3ee437d1, v51
	v_add_f32_e32 v49, v74, v49
	v_mul_f32_e32 v74, 0x3ee437d1, v55
	v_mov_b32_e32 v75, v74
	v_fmac_f32_e32 v75, 0xbf65296c, v53
	;; [unrolled: 4-line block ×11, first 2 shown]
	v_fma_f32 v61, v51, s8, -v61
	v_fmac_f32_e32 v74, 0x3f65296c, v53
	v_fmac_f32_e32 v41, 0xbf65296c, v104
	v_add_f32_e32 v49, v95, v49
	v_mul_f32_e32 v95, 0x3f3d2fb0, v101
	v_add_f32_e32 v15, v61, v15
	v_add_f32_e32 v14, v74, v14
	v_fma_f32 v61, v57, s9, -v75
	v_fmac_f32_e32 v76, 0xbf7ee86f, v58
	v_add_f32_e32 v41, v41, v99
	v_mov_b32_e32 v99, v95
	v_add_f32_e32 v15, v61, v15
	v_add_f32_e32 v14, v76, v14
	v_fma_f32 v61, v77, s15, -v79
	v_fmac_f32_e32 v80, 0x3f4c4adb, v78
	v_fmac_f32_e32 v99, 0xbf2c7751, v98
	v_mul_f32_e32 v100, 0xbf763a35, v108
	v_add_f32_e32 v15, v61, v15
	v_add_f32_e32 v14, v80, v14
	v_fma_f32 v61, v85, s6, -v82
	v_fmac_f32_e32 v84, 0xbeb8f4ab, v86
	v_add_f32_e32 v99, v99, v48
	v_mov_b32_e32 v48, v100
	v_add_f32_e32 v15, v61, v15
	v_add_f32_e32 v14, v84, v14
	v_fma_f32 v61, v93, s17, -v87
	v_fmac_f32_e32 v88, 0xbe3c28d5, v89
	v_fmac_f32_e32 v48, 0xbe8c1d8e, v103
	v_mul_f32_e32 v105, 0xbe8c1d8e, v107
	v_add_f32_e32 v15, v61, v15
	v_add_f32_e32 v14, v88, v14
	v_fma_f32 v61, v97, s7, -v94
	v_fmac_f32_e32 v95, 0x3f2c7751, v98
	v_add_f32_e32 v48, v48, v49
	v_mov_b32_e32 v49, v105
	v_add_f32_e32 v15, v61, v15
	v_add_f32_e32 v61, v95, v14
	v_fma_f32 v14, v103, s14, -v100
	v_fmac_f32_e32 v105, 0xbf763a35, v104
	v_mul_f32_e32 v56, 0x3eb8f4ab, v56
	v_add_f32_e32 v14, v14, v15
	v_add_f32_e32 v15, v105, v61
	v_mov_b32_e32 v61, v56
	v_fmac_f32_e32 v61, 0x3f6eb680, v51
	v_mul_f32_e32 v55, 0x3f6eb680, v55
	v_add_f32_e32 v47, v61, v47
	v_mov_b32_e32 v61, v55
	v_fmac_f32_e32 v61, 0xbeb8f4ab, v53
	v_mul_f32_e32 v60, 0xbf06c442, v60
	;; [unrolled: 4-line block ×3, first 2 shown]
	v_add_f32_e32 v47, v61, v47
	v_mov_b32_e32 v61, v59
	v_fmac_f32_e32 v61, 0x3f06c442, v58
	v_add_f32_e32 v46, v61, v46
	v_mul_f32_e32 v61, 0x3f2c7751, v83
	v_mov_b32_e32 v74, v61
	v_fmac_f32_e32 v74, 0x3f3d2fb0, v77
	v_add_f32_e32 v47, v74, v47
	v_mul_f32_e32 v74, 0x3f3d2fb0, v81
	;; [unrolled: 4-line block ×7, first 2 shown]
	v_mov_b32_e32 v82, v81
	v_fmac_f32_e32 v82, 0xbe8c1d8e, v97
	v_fma_f32 v51, v51, s6, -v56
	v_fmac_f32_e32 v55, 0x3eb8f4ab, v53
	v_add_f32_e32 v47, v82, v47
	v_mul_f32_e32 v82, 0xbe8c1d8e, v101
	v_add_f32_e32 v50, v51, v50
	v_add_f32_e32 v32, v55, v32
	v_fma_f32 v51, v57, s16, -v60
	v_fmac_f32_e32 v59, 0xbf06c442, v58
	v_mov_b32_e32 v83, v82
	v_add_f32_e32 v50, v51, v50
	v_add_f32_e32 v32, v59, v32
	v_fma_f32 v51, v77, s7, -v61
	v_fmac_f32_e32 v74, 0x3f2c7751, v78
	v_fmac_f32_e32 v83, 0x3f763a35, v98
	v_mul_f32_e32 v84, 0x3f7ee86f, v108
	v_add_f32_e32 v50, v51, v50
	v_add_f32_e32 v32, v74, v32
	v_fma_f32 v51, v85, s15, -v75
	v_fmac_f32_e32 v76, 0xbf4c4adb, v86
	v_add_f32_e32 v83, v83, v46
	v_mov_b32_e32 v46, v84
	v_add_f32_e32 v50, v51, v50
	v_add_f32_e32 v32, v76, v32
	v_fma_f32 v51, v93, s8, -v79
	v_fmac_f32_e32 v80, 0x3f65296c, v89
	v_fmac_f32_e32 v46, 0x3dbcf732, v103
	v_mul_f32_e32 v87, 0x3dbcf732, v107
	v_add_f32_e32 v50, v51, v50
	v_add_f32_e32 v32, v80, v32
	v_fma_f32 v51, v97, s14, -v81
	v_fmac_f32_e32 v82, 0xbf763a35, v98
	v_add_f32_e32 v46, v46, v47
	v_mov_b32_e32 v47, v87
	v_add_f32_e32 v50, v51, v50
	v_add_f32_e32 v32, v82, v32
	v_fma_f32 v51, v103, s9, -v84
	v_fmac_f32_e32 v87, 0x3f7ee86f, v104
	v_add_f32_e32 v50, v51, v50
	v_add_f32_e32 v51, v87, v32
	v_mov_b32_e32 v32, 0x908
	v_cndmask_b32_e64 v32, 0, v32, s[2:3]
	v_fmac_f32_e32 v49, 0x3f763a35, v104
	v_fmac_f32_e32 v47, 0xbf7ee86f, v104
	v_add_u32_e32 v32, 0, v32
	v_add_f32_e32 v49, v49, v99
	v_add_f32_e32 v47, v47, v83
	v_add3_u32 v30, v32, v30, v52
	s_barrier
	ds_write2_b64 v30, v[0:1], v[38:39] offset1:17
	ds_write2_b64 v30, v[12:13], v[42:43] offset0:34 offset1:51
	ds_write2_b64 v30, v[36:37], v[44:45] offset0:68 offset1:85
	;; [unrolled: 1-line block ×7, first 2 shown]
	ds_write_b64 v30, v[34:35] offset:2176
	s_waitcnt lgkmcnt(0)
	s_barrier
	ds_read2_b64 v[0:3], v54 offset0:33 offset1:67
	ds_read2_b64 v[4:7], v54 offset0:101 offset1:135
	ds_read_b64 v[60:61], v63
	ds_read_b64 v[56:57], v72
	;; [unrolled: 1-line block ×4, first 2 shown]
	ds_read2_b64 v[8:11], v54 offset0:169 offset1:203
	ds_read2_b64 v[12:15], v19 offset0:109 offset1:143
	ds_read_b64 v[58:59], v69
	ds_read_b64 v[54:55], v70
	;; [unrolled: 1-line block ×4, first 2 shown]
                                        ; implicit-def: $vgpr45
	s_and_saveexec_b64 s[2:3], vcc
	s_cbranch_execz .LBB0_14
; %bb.13:
	ds_read_b64 v[34:35], v66
	ds_read_b64 v[44:45], v65 offset:4488
	v_mov_b32_e32 v31, v22
.LBB0_14:
	s_or_b64 exec, exec, s[2:3]
	v_mov_b32_e32 v19, v33
	v_lshlrev_b64 v[42:43], 3, v[18:19]
	v_mov_b32_e32 v30, v33
	v_mov_b32_e32 v19, s13
	v_add_co_u32_e64 v74, s[2:3], s12, v42
	v_lshlrev_b64 v[40:41], 3, v[29:30]
	v_addc_co_u32_e64 v75, s[2:3], v19, v43, s[2:3]
	v_mov_b32_e32 v29, v33
	v_add_co_u32_e64 v76, s[2:3], s12, v40
	v_lshlrev_b64 v[38:39], 3, v[28:29]
	v_addc_co_u32_e64 v77, s[2:3], v19, v41, s[2:3]
	;; [unrolled: 4-line block ×3, first 2 shown]
	v_add_co_u32_e64 v27, s[2:3], s12, v36
	v_addc_co_u32_e64 v28, s[2:3], v19, v37, s[2:3]
	global_load_dwordx2 v[78:79], v[74:75], off offset:2176
	global_load_dwordx2 v[80:81], v[76:77], off offset:2176
	;; [unrolled: 1-line block ×4, first 2 shown]
	v_mov_b32_e32 v27, v33
	v_lshlrev_b64 v[29:30], 3, v[26:27]
	v_mov_b32_e32 v26, v33
	v_add_co_u32_e64 v74, s[2:3], s12, v29
	v_lshlrev_b64 v[27:28], 3, v[25:26]
	v_addc_co_u32_e64 v75, s[2:3], v19, v30, s[2:3]
	v_mov_b32_e32 v25, v33
	v_add_co_u32_e64 v76, s[2:3], s12, v27
	v_lshlrev_b64 v[25:26], 3, v[24:25]
	v_addc_co_u32_e64 v77, s[2:3], v19, v28, s[2:3]
	;; [unrolled: 4-line block ×3, first 2 shown]
	v_add_co_u32_e64 v32, s[2:3], s12, v23
	v_addc_co_u32_e64 v33, s[2:3], v19, v24, s[2:3]
	global_load_dwordx2 v[88:89], v[74:75], off offset:2176
	global_load_dwordx2 v[90:91], v[76:77], off offset:2176
	;; [unrolled: 1-line block ×3, first 2 shown]
	s_waitcnt vmcnt(6) lgkmcnt(11)
	v_mul_f32_e32 v19, v79, v1
	global_load_dwordx2 v[32:33], v[32:33], off offset:2176
	v_mul_f32_e32 v74, v79, v0
	s_waitcnt vmcnt(6)
	v_mul_f32_e32 v75, v81, v3
	v_mul_f32_e32 v76, v81, v2
	s_waitcnt vmcnt(5) lgkmcnt(10)
	v_mul_f32_e32 v77, v83, v5
	v_mul_f32_e32 v79, v83, v4
	s_waitcnt vmcnt(4)
	v_mul_f32_e32 v81, v85, v7
	v_mul_f32_e32 v83, v85, v6
	v_fmac_f32_e32 v19, v78, v0
	v_fma_f32 v1, v78, v1, -v74
	v_fmac_f32_e32 v75, v80, v2
	v_fma_f32 v74, v80, v3, -v76
	;; [unrolled: 2-line block ×4, first 2 shown]
	s_waitcnt lgkmcnt(9)
	v_sub_f32_e32 v1, v61, v1
	s_waitcnt lgkmcnt(8)
	v_sub_f32_e32 v4, v56, v75
	v_sub_f32_e32 v5, v57, v74
	v_fma_f32 v3, v61, 2.0, -v1
	v_fma_f32 v6, v56, 2.0, -v4
	;; [unrolled: 1-line block ×3, first 2 shown]
	s_waitcnt vmcnt(0) lgkmcnt(0)
	s_barrier
	v_mul_f32_e32 v85, v89, v9
	v_mul_f32_e32 v86, v89, v8
	;; [unrolled: 1-line block ×6, first 2 shown]
	v_fmac_f32_e32 v85, v88, v8
	v_fma_f32 v79, v88, v9, -v86
	v_fmac_f32_e32 v87, v90, v10
	v_fma_f32 v80, v90, v11, -v89
	;; [unrolled: 2-line block ×3, first 2 shown]
	v_sub_f32_e32 v8, v50, v77
	v_sub_f32_e32 v9, v51, v76
	;; [unrolled: 1-line block ×4, first 2 shown]
	v_fma_f32 v10, v50, 2.0, -v8
	v_fma_f32 v11, v51, 2.0, -v9
	v_sub_f32_e32 v56, v46, v91
	v_sub_f32_e32 v57, v47, v82
	v_fma_f32 v46, v46, 2.0, -v56
	v_fma_f32 v47, v47, 2.0, -v57
	v_mul_f32_e32 v94, v15, v33
	v_mul_f32_e32 v0, v14, v33
	v_fmac_f32_e32 v94, v14, v32
	v_fma_f32 v83, v15, v32, -v0
	v_sub_f32_e32 v0, v60, v19
	v_sub_f32_e32 v32, v58, v85
	;; [unrolled: 1-line block ×3, first 2 shown]
	v_fma_f32 v2, v60, 2.0, -v0
	v_fma_f32 v14, v52, 2.0, -v12
	;; [unrolled: 1-line block ×5, first 2 shown]
	v_sub_f32_e32 v52, v54, v87
	v_sub_f32_e32 v53, v55, v80
	v_sub_f32_e32 v58, v48, v94
	v_sub_f32_e32 v59, v49, v83
	v_fma_f32 v54, v54, 2.0, -v52
	v_fma_f32 v55, v55, 2.0, -v53
	;; [unrolled: 1-line block ×4, first 2 shown]
	ds_write_b64 v65, v[2:3]
	ds_write_b64 v65, v[0:1] offset:2312
	ds_write_b64 v72, v[6:7]
	ds_write_b64 v72, v[4:5] offset:2312
	;; [unrolled: 2-line block ×8, first 2 shown]
	s_and_saveexec_b64 s[6:7], vcc
	s_cbranch_execz .LBB0_16
; %bb.15:
	v_mov_b32_e32 v32, 0
	v_lshlrev_b64 v[0:1], 3, v[31:32]
	v_mov_b32_e32 v2, s13
	v_add_co_u32_e64 v0, s[2:3], s12, v0
	v_addc_co_u32_e64 v1, s[2:3], v2, v1, s[2:3]
	global_load_dwordx2 v[0:1], v[0:1], off offset:2176
	s_waitcnt vmcnt(0)
	v_mul_f32_e32 v2, v44, v1
	v_mul_f32_e32 v3, v45, v1
	v_fma_f32 v1, v45, v0, -v2
	v_fmac_f32_e32 v3, v44, v0
	v_sub_f32_e32 v1, v35, v1
	v_sub_f32_e32 v0, v34, v3
	v_fma_f32 v3, v35, 2.0, -v1
	v_fma_f32 v2, v34, 2.0, -v0
	ds_write_b64 v65, v[2:3] offset:2176
	ds_write_b64 v65, v[0:1] offset:4488
.LBB0_16:
	s_or_b64 exec, exec, s[6:7]
	s_waitcnt lgkmcnt(0)
	s_barrier
	ds_read_b64 v[2:3], v63
	s_add_u32 s8, s12, 0x1188
	s_addc_u32 s9, s13, 0
	v_sub_u32_e32 v4, v62, v64
	v_cmp_ne_u32_e64 s[2:3], 0, v18
                                        ; implicit-def: $vgpr1
                                        ; implicit-def: $vgpr5
	s_and_saveexec_b64 s[6:7], s[2:3]
	s_xor_b64 s[6:7], exec, s[6:7]
	s_cbranch_execz .LBB0_18
; %bb.17:
	v_mov_b32_e32 v1, s9
	v_add_co_u32_e64 v0, s[2:3], s8, v42
	v_addc_co_u32_e64 v1, s[2:3], v1, v43, s[2:3]
	global_load_dwordx2 v[6:7], v[0:1], off
	ds_read_b64 v[0:1], v4 offset:4624
	s_waitcnt lgkmcnt(0)
	v_add_f32_e32 v8, v0, v2
	v_sub_f32_e32 v0, v2, v0
	v_add_f32_e32 v5, v1, v3
	v_sub_f32_e32 v1, v3, v1
	v_mul_f32_e32 v3, 0.5, v0
	v_mul_f32_e32 v0, 0.5, v1
	v_mul_f32_e32 v2, 0.5, v5
	s_waitcnt vmcnt(0)
	v_mul_f32_e32 v1, v7, v3
	v_fma_f32 v9, 0.5, v8, v1
	v_fma_f32 v5, v2, v7, v0
	v_fma_f32 v7, v2, v7, -v0
	v_fma_f32 v0, v8, 0.5, -v1
	v_fmac_f32_e32 v9, v6, v2
	v_fma_f32 v5, -v6, v3, v5
	v_fma_f32 v0, -v6, v2, v0
	ds_write_b32 v63, v9
	v_fma_f32 v1, -v6, v3, v7
                                        ; implicit-def: $vgpr2_vgpr3
.LBB0_18:
	s_andn2_saveexec_b64 s[2:3], s[6:7]
	s_cbranch_execz .LBB0_20
; %bb.19:
	ds_read_b32 v1, v62 offset:2316
	v_mov_b32_e32 v5, 0
	s_waitcnt lgkmcnt(1)
	v_add_f32_e32 v6, v2, v3
	v_sub_f32_e32 v0, v2, v3
	ds_write_b32 v63, v6
	s_waitcnt lgkmcnt(1)
	v_xor_b32_e32 v1, 0x80000000, v1
	ds_write_b32 v62, v1 offset:2316
	v_mov_b32_e32 v1, v5
.LBB0_20:
	s_or_b64 exec, exec, s[2:3]
	s_waitcnt lgkmcnt(0)
	v_mov_b32_e32 v3, s9
	v_add_co_u32_e64 v2, s[2:3], s8, v40
	v_addc_co_u32_e64 v3, s[2:3], v3, v41, s[2:3]
	global_load_dwordx2 v[2:3], v[2:3], off
	v_mov_b32_e32 v7, s9
	v_add_co_u32_e64 v6, s[2:3], s8, v38
	v_addc_co_u32_e64 v7, s[2:3], v7, v39, s[2:3]
	global_load_dwordx2 v[6:7], v[6:7], off
	;; [unrolled: 4-line block ×3, first 2 shown]
	ds_write_b32 v63, v5 offset:4
	ds_write_b64 v4, v[0:1] offset:4624
	v_mov_b32_e32 v5, s9
	v_add_co_u32_e64 v12, s[2:3], s8, v29
	v_addc_co_u32_e64 v13, s[2:3], v5, v30, s[2:3]
	ds_read_b64 v[0:1], v72
	ds_read_b64 v[10:11], v4 offset:4352
	global_load_dwordx2 v[12:13], v[12:13], off
	v_mov_b32_e32 v14, s9
	v_mov_b32_e32 v15, s9
	;; [unrolled: 1-line block ×3, first 2 shown]
	s_waitcnt lgkmcnt(0)
	v_add_f32_e32 v5, v0, v10
	v_sub_f32_e32 v0, v0, v10
	v_add_f32_e32 v29, v1, v11
	v_sub_f32_e32 v1, v1, v11
	v_mul_f32_e32 v11, 0.5, v0
	v_mul_f32_e32 v10, 0.5, v29
	;; [unrolled: 1-line block ×3, first 2 shown]
	s_waitcnt vmcnt(3)
	v_mul_f32_e32 v29, v3, v11
	v_fma_f32 v1, v10, v3, v0
	v_fma_f32 v3, v10, v3, -v0
	v_fma_f32 v0, 0.5, v5, v29
	v_fma_f32 v5, v5, 0.5, -v29
	v_fma_f32 v1, -v2, v11, v1
	v_fma_f32 v3, -v2, v11, v3
	v_fmac_f32_e32 v0, v2, v10
	v_fma_f32 v2, -v2, v10, v5
	v_add_co_u32_e64 v10, s[2:3], s8, v27
	ds_write_b64 v72, v[0:1]
	ds_write_b64 v4, v[2:3] offset:4352
	v_addc_co_u32_e64 v11, s[2:3], v14, v28, s[2:3]
	ds_read_b64 v[0:1], v73
	ds_read_b64 v[2:3], v4 offset:4080
	global_load_dwordx2 v[10:11], v[10:11], off
	s_waitcnt lgkmcnt(0)
	v_add_f32_e32 v5, v0, v2
	v_sub_f32_e32 v0, v0, v2
	v_add_f32_e32 v14, v1, v3
	v_sub_f32_e32 v1, v1, v3
	v_mul_f32_e32 v3, 0.5, v0
	v_mul_f32_e32 v2, 0.5, v14
	;; [unrolled: 1-line block ×3, first 2 shown]
	s_waitcnt vmcnt(3)
	v_mul_f32_e32 v14, v7, v3
	v_fma_f32 v1, v2, v7, v0
	v_fma_f32 v7, v2, v7, -v0
	v_fma_f32 v0, 0.5, v5, v14
	v_fma_f32 v5, v5, 0.5, -v14
	v_fma_f32 v1, -v6, v3, v1
	v_fmac_f32_e32 v0, v6, v2
	v_fma_f32 v2, -v6, v2, v5
	v_add_co_u32_e64 v5, s[2:3], s8, v25
	v_fma_f32 v3, -v6, v3, v7
	ds_write_b64 v73, v[0:1]
	ds_write_b64 v4, v[2:3] offset:4080
	v_addc_co_u32_e64 v6, s[2:3], v15, v26, s[2:3]
	ds_read_b64 v[0:1], v71
	ds_read_b64 v[2:3], v4 offset:3808
	global_load_dwordx2 v[5:6], v[5:6], off
	s_waitcnt lgkmcnt(0)
	v_add_f32_e32 v7, v0, v2
	v_sub_f32_e32 v0, v0, v2
	v_add_f32_e32 v14, v1, v3
	v_sub_f32_e32 v1, v1, v3
	v_mul_f32_e32 v3, 0.5, v0
	v_mul_f32_e32 v2, 0.5, v14
	;; [unrolled: 1-line block ×3, first 2 shown]
	s_waitcnt vmcnt(3)
	v_mul_f32_e32 v14, v9, v3
	v_fma_f32 v1, v2, v9, v0
	v_fma_f32 v9, v2, v9, -v0
	v_fma_f32 v0, 0.5, v7, v14
	v_fma_f32 v7, v7, 0.5, -v14
	v_fma_f32 v1, -v8, v3, v1
	v_fmac_f32_e32 v0, v8, v2
	v_fma_f32 v2, -v8, v2, v7
	v_add_co_u32_e64 v7, s[2:3], s8, v23
	v_fma_f32 v3, -v8, v3, v9
	ds_write_b64 v71, v[0:1]
	ds_write_b64 v4, v[2:3] offset:3808
	v_addc_co_u32_e64 v8, s[2:3], v19, v24, s[2:3]
	ds_read_b64 v[0:1], v69
	ds_read_b64 v[2:3], v4 offset:3536
	global_load_dwordx2 v[7:8], v[7:8], off
	s_waitcnt lgkmcnt(0)
	v_add_f32_e32 v9, v0, v2
	v_sub_f32_e32 v0, v0, v2
	v_add_f32_e32 v14, v1, v3
	v_sub_f32_e32 v1, v1, v3
	v_mul_f32_e32 v3, 0.5, v0
	v_mul_f32_e32 v2, 0.5, v14
	;; [unrolled: 1-line block ×3, first 2 shown]
	s_waitcnt vmcnt(3)
	v_mul_f32_e32 v15, v13, v3
	v_fma_f32 v1, v2, v13, v14
	v_fma_f32 v0, 0.5, v9, v15
	v_fma_f32 v1, -v12, v3, v1
	v_fmac_f32_e32 v0, v12, v2
	ds_write_b64 v69, v[0:1]
	v_fma_f32 v0, v9, 0.5, -v15
	v_fma_f32 v1, v2, v13, -v14
	v_fma_f32 v0, -v12, v2, v0
	v_fma_f32 v1, -v12, v3, v1
	ds_write_b64 v4, v[0:1] offset:3536
	ds_read_b64 v[0:1], v70
	ds_read_b64 v[2:3], v4 offset:3264
	s_waitcnt lgkmcnt(0)
	v_add_f32_e32 v9, v0, v2
	v_sub_f32_e32 v0, v0, v2
	v_add_f32_e32 v12, v1, v3
	v_sub_f32_e32 v1, v1, v3
	v_mul_f32_e32 v2, 0.5, v0
	v_mul_f32_e32 v12, 0.5, v12
	v_mul_f32_e32 v3, 0.5, v1
	s_waitcnt vmcnt(2)
	v_mul_f32_e32 v13, v11, v2
	v_fma_f32 v0, 0.5, v9, v13
	v_fma_f32 v1, v12, v11, v3
	v_fmac_f32_e32 v0, v10, v12
	v_fma_f32 v1, -v10, v2, v1
	ds_write_b64 v70, v[0:1]
	v_fma_f32 v0, v9, 0.5, -v13
	v_fma_f32 v1, v12, v11, -v3
	v_fma_f32 v0, -v10, v12, v0
	v_fma_f32 v1, -v10, v2, v1
	ds_write_b64 v4, v[0:1] offset:3264
	ds_read_b64 v[0:1], v68
	ds_read_b64 v[2:3], v4 offset:2992
	s_waitcnt lgkmcnt(0)
	v_add_f32_e32 v9, v0, v2
	v_sub_f32_e32 v0, v0, v2
	v_add_f32_e32 v10, v1, v3
	v_sub_f32_e32 v1, v1, v3
	v_mul_f32_e32 v2, 0.5, v0
	v_mul_f32_e32 v10, 0.5, v10
	v_mul_f32_e32 v3, 0.5, v1
	s_waitcnt vmcnt(1)
	v_mul_f32_e32 v11, v6, v2
	v_fma_f32 v0, 0.5, v9, v11
	v_fma_f32 v1, v10, v6, v3
	v_fmac_f32_e32 v0, v5, v10
	v_fma_f32 v1, -v5, v2, v1
	;; [unrolled: 22-line block ×3, first 2 shown]
	ds_write_b64 v67, v[0:1]
	v_fma_f32 v0, v5, 0.5, -v9
	v_fma_f32 v1, v6, v8, -v3
	v_fma_f32 v0, -v7, v6, v0
	v_fma_f32 v1, -v7, v2, v1
	ds_write_b64 v4, v[0:1] offset:2720
	s_and_saveexec_b64 s[2:3], vcc
	s_cbranch_execz .LBB0_22
; %bb.21:
	v_mov_b32_e32 v23, 0
	v_lshlrev_b64 v[0:1], 3, v[22:23]
	v_mov_b32_e32 v2, s9
	v_add_co_u32_e32 v0, vcc, s8, v0
	v_addc_co_u32_e32 v1, vcc, v2, v1, vcc
	global_load_dwordx2 v[0:1], v[0:1], off
	ds_read_b64 v[2:3], v66
	ds_read_b64 v[5:6], v4 offset:2448
	s_waitcnt lgkmcnt(0)
	v_add_f32_e32 v7, v2, v5
	v_sub_f32_e32 v2, v2, v5
	v_add_f32_e32 v8, v3, v6
	v_sub_f32_e32 v3, v3, v6
	v_mul_f32_e32 v6, 0.5, v2
	v_mul_f32_e32 v5, 0.5, v8
	v_mul_f32_e32 v2, 0.5, v3
	s_waitcnt vmcnt(0)
	v_mul_f32_e32 v3, v1, v6
	v_fma_f32 v8, v5, v1, v2
	v_fma_f32 v9, v5, v1, -v2
	v_fma_f32 v1, 0.5, v7, v3
	v_fma_f32 v2, -v0, v6, v8
	v_fma_f32 v3, v7, 0.5, -v3
	v_fmac_f32_e32 v1, v0, v5
	v_fma_f32 v6, -v0, v6, v9
	v_fma_f32 v5, -v0, v5, v3
	ds_write_b64 v66, v[1:2]
	ds_write_b64 v4, v[5:6] offset:2448
.LBB0_22:
	s_or_b64 exec, exec, s[2:3]
	s_waitcnt lgkmcnt(0)
	s_barrier
	s_and_saveexec_b64 s[2:3], s[0:1]
	s_cbranch_execz .LBB0_25
; %bb.23:
	v_mul_lo_u32 v0, s5, v20
	v_mul_lo_u32 v3, s4, v21
	v_mad_u64_u32 v[1:2], s[0:1], s4, v20, 0
	v_mov_b32_e32 v7, s11
	v_mov_b32_e32 v19, 0
	v_add3_u32 v2, v2, v3, v0
	v_lshlrev_b64 v[1:2], 3, v[1:2]
	v_lshl_add_u32 v0, v18, 3, v62
	v_add_co_u32_e32 v1, vcc, s10, v1
	v_addc_co_u32_e32 v9, vcc, v7, v2, vcc
	v_lshlrev_b64 v[7:8], 3, v[16:17]
	ds_read2_b64 v[3:6], v0 offset1:34
	v_add_co_u32_e32 v2, vcc, v1, v7
	v_addc_co_u32_e32 v1, vcc, v9, v8, vcc
	v_lshlrev_b64 v[7:8], 3, v[18:19]
	v_add_u32_e32 v9, 0x800, v0
	v_add_co_u32_e32 v7, vcc, v2, v7
	v_addc_co_u32_e32 v8, vcc, v1, v8, vcc
	s_waitcnt lgkmcnt(0)
	global_store_dwordx2 v[7:8], v[3:4], off
	v_add_u32_e32 v3, 34, v18
	v_mov_b32_e32 v4, v19
	v_lshlrev_b64 v[3:4], 3, v[3:4]
	v_add_u32_e32 v7, 0x44, v18
	v_add_co_u32_e32 v3, vcc, v2, v3
	v_addc_co_u32_e32 v4, vcc, v1, v4, vcc
	global_store_dwordx2 v[3:4], v[5:6], off
	v_mov_b32_e32 v8, v19
	ds_read2_b64 v[3:6], v0 offset0:68 offset1:102
	v_lshlrev_b64 v[7:8], 3, v[7:8]
	v_add_co_u32_e32 v7, vcc, v2, v7
	v_addc_co_u32_e32 v8, vcc, v1, v8, vcc
	s_waitcnt lgkmcnt(0)
	global_store_dwordx2 v[7:8], v[3:4], off
	v_add_u32_e32 v3, 0x66, v18
	v_mov_b32_e32 v4, v19
	v_lshlrev_b64 v[3:4], 3, v[3:4]
	v_add_u32_e32 v7, 0x88, v18
	v_add_co_u32_e32 v3, vcc, v2, v3
	v_addc_co_u32_e32 v4, vcc, v1, v4, vcc
	global_store_dwordx2 v[3:4], v[5:6], off
	v_mov_b32_e32 v8, v19
	ds_read2_b64 v[3:6], v0 offset0:136 offset1:170
	v_lshlrev_b64 v[7:8], 3, v[7:8]
	;; [unrolled: 14-line block ×7, first 2 shown]
	v_add_co_u32_e32 v7, vcc, v2, v7
	v_addc_co_u32_e32 v8, vcc, v1, v8, vcc
	s_waitcnt lgkmcnt(0)
	global_store_dwordx2 v[7:8], v[3:4], off
	v_add_u32_e32 v3, 0x1fe, v18
	v_mov_b32_e32 v4, v19
	v_lshlrev_b64 v[3:4], 3, v[3:4]
	v_add_co_u32_e32 v3, vcc, v2, v3
	v_addc_co_u32_e32 v4, vcc, v1, v4, vcc
	global_store_dwordx2 v[3:4], v[5:6], off
	v_add_u32_e32 v3, 0x220, v18
	v_mov_b32_e32 v4, v19
	ds_read_b64 v[5:6], v0 offset:4352
	v_lshlrev_b64 v[3:4], 3, v[3:4]
	v_add_co_u32_e32 v3, vcc, v2, v3
	v_addc_co_u32_e32 v4, vcc, v1, v4, vcc
	v_cmp_eq_u32_e32 vcc, 33, v18
	s_waitcnt lgkmcnt(0)
	global_store_dwordx2 v[3:4], v[5:6], off
	s_and_b64 exec, exec, vcc
	s_cbranch_execz .LBB0_25
; %bb.24:
	ds_read_b64 v[3:4], v0 offset:4360
	v_add_co_u32_e32 v0, vcc, 0x1000, v2
	v_addc_co_u32_e32 v1, vcc, 0, v1, vcc
	s_waitcnt lgkmcnt(0)
	global_store_dwordx2 v[0:1], v[3:4], off offset:528
.LBB0_25:
	s_endpgm
	.section	.rodata,"a",@progbits
	.p2align	6, 0x0
	.amdhsa_kernel fft_rtc_back_len578_factors_17_17_2_wgs_238_tpt_34_halfLds_sp_op_CI_CI_unitstride_sbrr_R2C_dirReg
		.amdhsa_group_segment_fixed_size 0
		.amdhsa_private_segment_fixed_size 0
		.amdhsa_kernarg_size 104
		.amdhsa_user_sgpr_count 6
		.amdhsa_user_sgpr_private_segment_buffer 1
		.amdhsa_user_sgpr_dispatch_ptr 0
		.amdhsa_user_sgpr_queue_ptr 0
		.amdhsa_user_sgpr_kernarg_segment_ptr 1
		.amdhsa_user_sgpr_dispatch_id 0
		.amdhsa_user_sgpr_flat_scratch_init 0
		.amdhsa_user_sgpr_private_segment_size 0
		.amdhsa_uses_dynamic_stack 0
		.amdhsa_system_sgpr_private_segment_wavefront_offset 0
		.amdhsa_system_sgpr_workgroup_id_x 1
		.amdhsa_system_sgpr_workgroup_id_y 0
		.amdhsa_system_sgpr_workgroup_id_z 0
		.amdhsa_system_sgpr_workgroup_info 0
		.amdhsa_system_vgpr_workitem_id 0
		.amdhsa_next_free_vgpr 111
		.amdhsa_next_free_sgpr 28
		.amdhsa_reserve_vcc 1
		.amdhsa_reserve_flat_scratch 0
		.amdhsa_float_round_mode_32 0
		.amdhsa_float_round_mode_16_64 0
		.amdhsa_float_denorm_mode_32 3
		.amdhsa_float_denorm_mode_16_64 3
		.amdhsa_dx10_clamp 1
		.amdhsa_ieee_mode 1
		.amdhsa_fp16_overflow 0
		.amdhsa_exception_fp_ieee_invalid_op 0
		.amdhsa_exception_fp_denorm_src 0
		.amdhsa_exception_fp_ieee_div_zero 0
		.amdhsa_exception_fp_ieee_overflow 0
		.amdhsa_exception_fp_ieee_underflow 0
		.amdhsa_exception_fp_ieee_inexact 0
		.amdhsa_exception_int_div_zero 0
	.end_amdhsa_kernel
	.text
.Lfunc_end0:
	.size	fft_rtc_back_len578_factors_17_17_2_wgs_238_tpt_34_halfLds_sp_op_CI_CI_unitstride_sbrr_R2C_dirReg, .Lfunc_end0-fft_rtc_back_len578_factors_17_17_2_wgs_238_tpt_34_halfLds_sp_op_CI_CI_unitstride_sbrr_R2C_dirReg
                                        ; -- End function
	.section	.AMDGPU.csdata,"",@progbits
; Kernel info:
; codeLenInByte = 16064
; NumSgprs: 32
; NumVgprs: 111
; ScratchSize: 0
; MemoryBound: 0
; FloatMode: 240
; IeeeMode: 1
; LDSByteSize: 0 bytes/workgroup (compile time only)
; SGPRBlocks: 3
; VGPRBlocks: 27
; NumSGPRsForWavesPerEU: 32
; NumVGPRsForWavesPerEU: 111
; Occupancy: 2
; WaveLimiterHint : 1
; COMPUTE_PGM_RSRC2:SCRATCH_EN: 0
; COMPUTE_PGM_RSRC2:USER_SGPR: 6
; COMPUTE_PGM_RSRC2:TRAP_HANDLER: 0
; COMPUTE_PGM_RSRC2:TGID_X_EN: 1
; COMPUTE_PGM_RSRC2:TGID_Y_EN: 0
; COMPUTE_PGM_RSRC2:TGID_Z_EN: 0
; COMPUTE_PGM_RSRC2:TIDIG_COMP_CNT: 0
	.type	__hip_cuid_f7806cc625566ee2,@object ; @__hip_cuid_f7806cc625566ee2
	.section	.bss,"aw",@nobits
	.globl	__hip_cuid_f7806cc625566ee2
__hip_cuid_f7806cc625566ee2:
	.byte	0                               ; 0x0
	.size	__hip_cuid_f7806cc625566ee2, 1

	.ident	"AMD clang version 19.0.0git (https://github.com/RadeonOpenCompute/llvm-project roc-6.4.0 25133 c7fe45cf4b819c5991fe208aaa96edf142730f1d)"
	.section	".note.GNU-stack","",@progbits
	.addrsig
	.addrsig_sym __hip_cuid_f7806cc625566ee2
	.amdgpu_metadata
---
amdhsa.kernels:
  - .args:
      - .actual_access:  read_only
        .address_space:  global
        .offset:         0
        .size:           8
        .value_kind:     global_buffer
      - .offset:         8
        .size:           8
        .value_kind:     by_value
      - .actual_access:  read_only
        .address_space:  global
        .offset:         16
        .size:           8
        .value_kind:     global_buffer
      - .actual_access:  read_only
        .address_space:  global
        .offset:         24
        .size:           8
        .value_kind:     global_buffer
      - .actual_access:  read_only
        .address_space:  global
        .offset:         32
        .size:           8
        .value_kind:     global_buffer
      - .offset:         40
        .size:           8
        .value_kind:     by_value
      - .actual_access:  read_only
        .address_space:  global
        .offset:         48
        .size:           8
        .value_kind:     global_buffer
      - .actual_access:  read_only
        .address_space:  global
        .offset:         56
        .size:           8
        .value_kind:     global_buffer
      - .offset:         64
        .size:           4
        .value_kind:     by_value
      - .actual_access:  read_only
        .address_space:  global
        .offset:         72
        .size:           8
        .value_kind:     global_buffer
      - .actual_access:  read_only
        .address_space:  global
        .offset:         80
        .size:           8
        .value_kind:     global_buffer
      - .actual_access:  read_only
        .address_space:  global
        .offset:         88
        .size:           8
        .value_kind:     global_buffer
      - .actual_access:  write_only
        .address_space:  global
        .offset:         96
        .size:           8
        .value_kind:     global_buffer
    .group_segment_fixed_size: 0
    .kernarg_segment_align: 8
    .kernarg_segment_size: 104
    .language:       OpenCL C
    .language_version:
      - 2
      - 0
    .max_flat_workgroup_size: 238
    .name:           fft_rtc_back_len578_factors_17_17_2_wgs_238_tpt_34_halfLds_sp_op_CI_CI_unitstride_sbrr_R2C_dirReg
    .private_segment_fixed_size: 0
    .sgpr_count:     32
    .sgpr_spill_count: 0
    .symbol:         fft_rtc_back_len578_factors_17_17_2_wgs_238_tpt_34_halfLds_sp_op_CI_CI_unitstride_sbrr_R2C_dirReg.kd
    .uniform_work_group_size: 1
    .uses_dynamic_stack: false
    .vgpr_count:     111
    .vgpr_spill_count: 0
    .wavefront_size: 64
amdhsa.target:   amdgcn-amd-amdhsa--gfx906
amdhsa.version:
  - 1
  - 2
...

	.end_amdgpu_metadata
